;; amdgpu-corpus repo=ROCm/rocFFT kind=compiled arch=gfx1201 opt=O3
	.text
	.amdgcn_target "amdgcn-amd-amdhsa--gfx1201"
	.amdhsa_code_object_version 6
	.protected	bluestein_single_fwd_len143_dim1_dp_op_CI_CI ; -- Begin function bluestein_single_fwd_len143_dim1_dp_op_CI_CI
	.globl	bluestein_single_fwd_len143_dim1_dp_op_CI_CI
	.p2align	8
	.type	bluestein_single_fwd_len143_dim1_dp_op_CI_CI,@function
bluestein_single_fwd_len143_dim1_dp_op_CI_CI: ; @bluestein_single_fwd_len143_dim1_dp_op_CI_CI
; %bb.0:
	s_load_b128 s[8:11], s[0:1], 0x28
	v_mul_u32_u24_e32 v1, 0x13b2, v0
	s_mov_b32 s2, exec_lo
	s_delay_alu instid0(VALU_DEP_1) | instskip(NEXT) | instid1(VALU_DEP_1)
	v_lshrrev_b32_e32 v1, 16, v1
	v_mad_co_u64_u32 v[92:93], null, ttmp9, 14, v[1:2]
	v_mov_b32_e32 v93, 0
	s_wait_kmcnt 0x0
	s_delay_alu instid0(VALU_DEP_1)
	v_cmpx_gt_u64_e64 s[8:9], v[92:93]
	s_cbranch_execz .LBB0_15
; %bb.1:
	v_lshrrev_b32_e32 v2, 1, v92
	v_mul_lo_u16 v1, v1, 13
	s_clause 0x1
	s_load_b64 s[8:9], s[0:1], 0x0
	s_load_b64 s[12:13], s[0:1], 0x38
	v_mul_hi_u32 v2, 0x92492493, v2
	v_sub_nc_u16 v0, v0, v1
	s_delay_alu instid0(VALU_DEP_1) | instskip(SKIP_1) | instid1(VALU_DEP_4)
	v_and_b32_e32 v158, 0xffff, v0
	v_cmp_gt_u16_e32 vcc_lo, 11, v0
	v_lshrrev_b32_e32 v2, 2, v2
	s_delay_alu instid0(VALU_DEP_3) | instskip(NEXT) | instid1(VALU_DEP_2)
	v_lshlrev_b32_e32 v157, 4, v158
	v_mul_lo_u32 v2, v2, 14
	s_delay_alu instid0(VALU_DEP_1) | instskip(NEXT) | instid1(VALU_DEP_1)
	v_sub_nc_u32_e32 v1, v92, v2
	v_mul_u32_u24_e32 v161, 0x8f, v1
	s_delay_alu instid0(VALU_DEP_1)
	v_lshlrev_b32_e32 v159, 4, v161
	s_and_saveexec_b32 s3, vcc_lo
	s_cbranch_execz .LBB0_3
; %bb.2:
	s_load_b64 s[4:5], s[0:1], 0x18
	s_wait_kmcnt 0x0
	s_load_b128 s[4:7], s[4:5], 0x0
	s_wait_kmcnt 0x0
	v_mad_co_u64_u32 v[16:17], null, s4, v158, 0
	v_mad_co_u64_u32 v[0:1], null, s6, v92, 0
	s_delay_alu instid0(VALU_DEP_2) | instskip(NEXT) | instid1(VALU_DEP_1)
	v_mov_b32_e32 v2, v17
	v_mad_co_u64_u32 v[3:4], null, s7, v92, v[1:2]
	s_delay_alu instid0(VALU_DEP_1) | instskip(SKIP_2) | instid1(VALU_DEP_2)
	v_mov_b32_e32 v1, v3
	v_mad_co_u64_u32 v[4:5], null, s5, v158, v[2:3]
	s_mul_u64 s[4:5], s[4:5], 0xb0
	v_lshlrev_b64_e32 v[18:19], 4, v[0:1]
	s_delay_alu instid0(VALU_DEP_2)
	v_mov_b32_e32 v17, v4
	s_clause 0x3
	global_load_b128 v[0:3], v157, s[8:9]
	global_load_b128 v[4:7], v157, s[8:9] offset:176
	global_load_b128 v[8:11], v157, s[8:9] offset:352
	;; [unrolled: 1-line block ×3, first 2 shown]
	v_add_co_u32 v26, s2, s10, v18
	s_delay_alu instid0(VALU_DEP_1)
	v_add_co_ci_u32_e64 v27, s2, s11, v19, s2
	v_lshlrev_b64_e32 v[24:25], 4, v[16:17]
	s_clause 0x1
	global_load_b128 v[16:19], v157, s[8:9] offset:704
	global_load_b128 v[20:23], v157, s[8:9] offset:880
	v_add_co_u32 v40, s2, v26, v24
	s_wait_alu 0xf1ff
	v_add_co_ci_u32_e64 v41, s2, v27, v25, s2
	s_clause 0x1
	global_load_b128 v[24:27], v157, s[8:9] offset:1056
	global_load_b128 v[28:31], v157, s[8:9] offset:1232
	s_wait_alu 0xfffe
	v_add_co_u32 v44, s2, v40, s4
	s_wait_alu 0xf1ff
	v_add_co_ci_u32_e64 v45, s2, s5, v41, s2
	s_clause 0x1
	global_load_b128 v[32:35], v157, s[8:9] offset:1408
	global_load_b128 v[36:39], v157, s[8:9] offset:1584
	v_add_co_u32 v48, s2, v44, s4
	s_wait_alu 0xf1ff
	v_add_co_ci_u32_e64 v49, s2, s5, v45, s2
	s_clause 0x1
	global_load_b128 v[40:43], v[40:41], off
	global_load_b128 v[44:47], v[44:45], off
	v_add_co_u32 v52, s2, v48, s4
	s_wait_alu 0xf1ff
	v_add_co_ci_u32_e64 v53, s2, s5, v49, s2
	s_delay_alu instid0(VALU_DEP_2) | instskip(SKIP_1) | instid1(VALU_DEP_2)
	v_add_co_u32 v56, s2, v52, s4
	s_wait_alu 0xf1ff
	v_add_co_ci_u32_e64 v57, s2, s5, v53, s2
	s_clause 0x1
	global_load_b128 v[48:51], v[48:49], off
	global_load_b128 v[52:55], v[52:53], off
	v_add_co_u32 v60, s2, v56, s4
	s_wait_alu 0xf1ff
	v_add_co_ci_u32_e64 v61, s2, s5, v57, s2
	global_load_b128 v[56:59], v[56:57], off
	v_add_co_u32 v64, s2, v60, s4
	s_wait_alu 0xf1ff
	v_add_co_ci_u32_e64 v65, s2, s5, v61, s2
	;; [unrolled: 4-line block ×8, first 2 shown]
	s_clause 0x1
	global_load_b128 v[84:87], v157, s[8:9] offset:1760
	global_load_b128 v[88:91], v157, s[8:9] offset:1936
	global_load_b128 v[93:96], v[93:94], off
	global_load_b128 v[97:100], v157, s[8:9] offset:2112
	global_load_b128 v[101:104], v[101:102], off
	s_wait_loadcnt 0xf
	v_mul_f64_e32 v[105:106], v[42:43], v[2:3]
	v_mul_f64_e32 v[2:3], v[40:41], v[2:3]
	s_wait_loadcnt 0xe
	v_mul_f64_e32 v[107:108], v[46:47], v[6:7]
	v_mul_f64_e32 v[6:7], v[44:45], v[6:7]
	;; [unrolled: 3-line block ×10, first 2 shown]
	v_fma_f64 v[38:39], v[40:41], v[0:1], v[105:106]
	v_fma_f64 v[40:41], v[42:43], v[0:1], -v[2:3]
	v_fma_f64 v[0:1], v[44:45], v[4:5], v[107:108]
	v_fma_f64 v[2:3], v[46:47], v[4:5], -v[6:7]
	s_wait_loadcnt 0x4
	v_mul_f64_e32 v[127:128], v[82:83], v[86:87]
	v_mul_f64_e32 v[86:87], v[80:81], v[86:87]
	s_wait_loadcnt 0x2
	v_mul_f64_e32 v[129:130], v[95:96], v[90:91]
	v_mul_f64_e32 v[90:91], v[93:94], v[90:91]
	;; [unrolled: 3-line block ×3, first 2 shown]
	v_fma_f64 v[4:5], v[48:49], v[8:9], v[109:110]
	v_fma_f64 v[6:7], v[50:51], v[8:9], -v[10:11]
	v_fma_f64 v[8:9], v[52:53], v[12:13], v[111:112]
	v_fma_f64 v[10:11], v[54:55], v[12:13], -v[14:15]
	v_fma_f64 v[12:13], v[56:57], v[16:17], v[113:114]
	v_fma_f64 v[14:15], v[58:59], v[16:17], -v[18:19]
	v_fma_f64 v[16:17], v[60:61], v[20:21], v[115:116]
	v_fma_f64 v[18:19], v[62:63], v[20:21], -v[22:23]
	v_fma_f64 v[20:21], v[64:65], v[24:25], v[117:118]
	v_fma_f64 v[22:23], v[66:67], v[24:25], -v[26:27]
	v_fma_f64 v[24:25], v[68:69], v[28:29], v[119:120]
	v_fma_f64 v[26:27], v[70:71], v[28:29], -v[30:31]
	v_fma_f64 v[28:29], v[72:73], v[32:33], v[121:122]
	v_fma_f64 v[30:31], v[74:75], v[32:33], -v[34:35]
	v_fma_f64 v[32:33], v[76:77], v[36:37], v[123:124]
	v_fma_f64 v[34:35], v[78:79], v[36:37], -v[125:126]
	v_lshl_add_u32 v36, v158, 4, v159
	v_add_nc_u32_e32 v37, v159, v157
	v_fma_f64 v[42:43], v[80:81], v[84:85], v[127:128]
	v_fma_f64 v[44:45], v[82:83], v[84:85], -v[86:87]
	v_fma_f64 v[46:47], v[93:94], v[88:89], v[129:130]
	v_fma_f64 v[48:49], v[95:96], v[88:89], -v[90:91]
	;; [unrolled: 2-line block ×3, first 2 shown]
	ds_store_b128 v36, v[38:41]
	ds_store_b128 v37, v[0:3] offset:176
	ds_store_b128 v37, v[4:7] offset:352
	;; [unrolled: 1-line block ×12, first 2 shown]
.LBB0_3:
	s_or_b32 exec_lo, exec_lo, s3
	s_clause 0x1
	s_load_b64 s[2:3], s[0:1], 0x20
	s_load_b64 s[4:5], s[0:1], 0x8
	global_wb scope:SCOPE_SE
	s_wait_dscnt 0x0
	s_wait_kmcnt 0x0
	s_barrier_signal -1
	s_barrier_wait -1
	global_inv scope:SCOPE_SE
                                        ; implicit-def: $vgpr24_vgpr25
                                        ; implicit-def: $vgpr48_vgpr49
                                        ; implicit-def: $vgpr52_vgpr53
                                        ; implicit-def: $vgpr56_vgpr57
                                        ; implicit-def: $vgpr44_vgpr45
                                        ; implicit-def: $vgpr40_vgpr41
                                        ; implicit-def: $vgpr36_vgpr37
                                        ; implicit-def: $vgpr32_vgpr33
                                        ; implicit-def: $vgpr28_vgpr29
                                        ; implicit-def: $vgpr20_vgpr21
                                        ; implicit-def: $vgpr16_vgpr17
                                        ; implicit-def: $vgpr12_vgpr13
                                        ; implicit-def: $vgpr8_vgpr9
	s_and_saveexec_b32 s0, vcc_lo
	s_cbranch_execz .LBB0_5
; %bb.4:
	v_lshl_add_u32 v0, v161, 4, v157
	ds_load_b128 v[24:27], v0
	ds_load_b128 v[48:51], v0 offset:176
	ds_load_b128 v[52:55], v0 offset:352
	;; [unrolled: 1-line block ×12, first 2 shown]
.LBB0_5:
	s_wait_alu 0xfffe
	s_or_b32 exec_lo, exec_lo, s0
	s_wait_dscnt 0x0
	v_add_f64_e64 v[149:150], v[50:51], -v[10:11]
	v_add_f64_e64 v[93:94], v[48:49], -v[8:9]
	s_mov_b32 s10, 0x4267c47c
	s_mov_b32 s6, 0x42a4c3d2
	s_mov_b32 s11, 0xbfddbe06
	s_mov_b32 s7, 0xbfea55e2
	v_add_f64_e32 v[90:91], v[48:49], v[8:9]
	v_add_f64_e32 v[151:152], v[50:51], v[10:11]
	v_add_f64_e64 v[147:148], v[54:55], -v[14:15]
	v_add_f64_e64 v[101:102], v[52:53], -v[12:13]
	s_mov_b32 s16, 0xe00740e9
	s_mov_b32 s0, 0x1ea71119
	s_mov_b32 s14, 0x2ef20147
	s_mov_b32 s17, 0x3fec55a7
	s_mov_b32 s1, 0x3fe22d96
	s_mov_b32 s15, 0xbfedeba7
	v_add_f64_e32 v[103:104], v[52:53], v[12:13]
	v_add_f64_e32 v[153:154], v[54:55], v[14:15]
	v_add_f64_e64 v[107:108], v[58:59], -v[18:19]
	v_add_f64_e64 v[127:128], v[56:57], -v[16:17]
	s_mov_b32 s18, 0xb2365da1
	s_mov_b32 s30, 0x66966769
	;; [unrolled: 10-line block ×3, first 2 shown]
	s_mov_b32 s22, 0x24c2f84
	s_mov_b32 s35, 0x3fbedb7d
	;; [unrolled: 1-line block ×4, first 2 shown]
	v_add_f64_e32 v[66:67], v[44:45], v[20:21]
	v_add_f64_e32 v[145:146], v[46:47], v[22:23]
	s_wait_alu 0xfffe
	v_mul_f64_e32 v[115:116], s[10:11], v[149:150]
	v_mul_f64_e32 v[119:120], s[10:11], v[93:94]
	;; [unrolled: 1-line block ×4, first 2 shown]
	v_add_f64_e64 v[62:63], v[40:41], -v[28:29]
	v_add_f64_e64 v[109:110], v[42:43], -v[30:31]
	s_mov_b32 s26, 0xd0032e0c
	s_mov_b32 s27, 0xbfe7f3cc
	v_mul_f64_e32 v[105:106], s[6:7], v[147:148]
	v_mul_f64_e32 v[111:112], s[6:7], v[101:102]
	;; [unrolled: 1-line block ×4, first 2 shown]
	s_mov_b32 s29, 0xbfe5384d
	s_mov_b32 s37, 0x3fefc445
	;; [unrolled: 1-line block ×4, first 2 shown]
	v_add_f64_e32 v[129:130], v[42:43], v[30:31]
	v_add_f64_e64 v[133:134], v[38:39], -v[34:35]
	v_mul_f64_e32 v[135:136], s[30:31], v[107:108]
	v_mul_f64_e32 v[137:138], s[30:31], v[127:128]
	;; [unrolled: 1-line block ×4, first 2 shown]
	s_mov_b32 s39, 0x3fddbe06
	s_mov_b32 s38, s10
	v_mul_lo_u16 v160, v158, 13
	global_wb scope:SCOPE_SE
	s_barrier_signal -1
	s_barrier_wait -1
	v_mul_f64_e32 v[97:98], s[14:15], v[113:114]
	v_mul_f64_e32 v[95:96], s[14:15], v[82:83]
	;; [unrolled: 1-line block ×4, first 2 shown]
	global_inv scope:SCOPE_SE
	v_fma_f64 v[0:1], v[90:91], s[16:17], v[115:116]
	v_fma_f64 v[2:3], v[151:152], s[16:17], -v[119:120]
	v_fma_f64 v[4:5], v[90:91], s[0:1], v[121:122]
	v_fma_f64 v[6:7], v[151:152], s[0:1], -v[123:124]
	v_mul_f64_e32 v[84:85], s[28:29], v[62:63]
	v_mul_f64_e32 v[80:81], s[28:29], v[109:110]
	v_mul_f64_e32 v[86:87], s[36:37], v[109:110]
	v_mul_f64_e32 v[88:89], s[36:37], v[62:63]
	v_fma_f64 v[60:61], v[103:104], s[0:1], v[105:106]
	v_fma_f64 v[64:65], v[153:154], s[0:1], -v[111:112]
	v_fma_f64 v[68:69], v[103:104], s[18:19], v[117:118]
	v_fma_f64 v[72:73], v[153:154], s[18:19], -v[125:126]
	;; [unrolled: 2-line block ×4, first 2 shown]
	v_fma_f64 v[164:165], v[145:146], s[18:19], -v[97:98]
	v_fma_f64 v[162:163], v[66:67], s[18:19], v[95:96]
	v_fma_f64 v[166:167], v[66:67], s[26:27], v[99:100]
	v_fma_f64 v[168:169], v[145:146], s[26:27], -v[131:132]
	v_add_f64_e32 v[0:1], v[24:25], v[0:1]
	v_add_f64_e32 v[2:3], v[26:27], v[2:3]
	;; [unrolled: 1-line block ×4, first 2 shown]
	v_fma_f64 v[172:173], v[129:130], s[26:27], -v[84:85]
	v_fma_f64 v[176:177], v[129:130], s[34:35], -v[88:89]
	v_add_f64_e32 v[0:1], v[60:61], v[0:1]
	v_add_f64_e32 v[2:3], v[64:65], v[2:3]
	;; [unrolled: 1-line block ×5, first 2 shown]
	v_add_f64_e64 v[60:61], v[36:37], -v[32:33]
	v_add_f64_e32 v[64:65], v[36:37], v[32:33]
	v_mul_f64_e32 v[72:73], s[20:21], v[133:134]
	v_add_f64_e32 v[0:1], v[74:75], v[0:1]
	v_add_f64_e32 v[2:3], v[76:77], v[2:3]
	;; [unrolled: 1-line block ×5, first 2 shown]
	v_mul_f64_e32 v[74:75], s[20:21], v[60:61]
	v_mul_f64_e32 v[76:77], s[38:39], v[133:134]
	;; [unrolled: 1-line block ×3, first 2 shown]
	v_fma_f64 v[170:171], v[68:69], s[26:27], v[80:81]
	v_fma_f64 v[174:175], v[68:69], s[34:35], v[86:87]
	v_add_f64_e32 v[0:1], v[162:163], v[0:1]
	v_add_f64_e32 v[2:3], v[164:165], v[2:3]
	;; [unrolled: 1-line block ×4, first 2 shown]
	v_fma_f64 v[162:163], v[64:65], s[24:25], v[72:73]
	v_fma_f64 v[164:165], v[141:142], s[24:25], -v[74:75]
	v_fma_f64 v[166:167], v[64:65], s[16:17], v[76:77]
	v_fma_f64 v[168:169], v[141:142], s[16:17], -v[78:79]
	v_add_f64_e32 v[0:1], v[170:171], v[0:1]
	v_add_f64_e32 v[2:3], v[172:173], v[2:3]
	;; [unrolled: 1-line block ×4, first 2 shown]
	s_delay_alu instid0(VALU_DEP_4) | instskip(NEXT) | instid1(VALU_DEP_4)
	v_add_f64_e32 v[0:1], v[162:163], v[0:1]
	v_add_f64_e32 v[2:3], v[164:165], v[2:3]
	s_delay_alu instid0(VALU_DEP_4) | instskip(NEXT) | instid1(VALU_DEP_4)
	v_add_f64_e32 v[4:5], v[166:167], v[4:5]
	v_add_f64_e32 v[6:7], v[168:169], v[6:7]
	s_and_saveexec_b32 s33, vcc_lo
	s_cbranch_execz .LBB0_7
; %bb.6:
	v_add_f64_e32 v[50:51], v[26:27], v[50:51]
	v_add_f64_e32 v[48:49], v[24:25], v[48:49]
	v_mul_f64_e32 v[174:175], s[24:25], v[151:152]
	v_mul_f64_e32 v[176:177], s[20:21], v[149:150]
	;; [unrolled: 1-line block ×5, first 2 shown]
	s_mov_b32 s41, 0x3fedeba7
	s_mov_b32 s40, s14
	;; [unrolled: 1-line block ×4, first 2 shown]
	v_mul_f64_e32 v[162:163], s[0:1], v[103:104]
	v_mul_f64_e32 v[164:165], s[0:1], v[153:154]
	;; [unrolled: 1-line block ×18, first 2 shown]
	s_mov_b32 s43, 0x3fea55e2
	s_mov_b32 s42, s6
	v_mul_f64_e32 v[170:171], s[34:35], v[70:71]
	v_mul_f64_e32 v[178:179], s[24:25], v[70:71]
	;; [unrolled: 1-line block ×7, first 2 shown]
	v_add_f64_e32 v[50:51], v[50:51], v[54:55]
	v_add_f64_e32 v[48:49], v[48:49], v[52:53]
	v_mul_f64_e32 v[54:55], s[16:17], v[151:152]
	v_mul_f64_e32 v[52:53], s[16:17], v[90:91]
	v_fma_f64 v[236:237], v[93:94], s[44:45], v[174:175]
	v_fma_f64 v[238:239], v[90:91], s[24:25], v[176:177]
	;; [unrolled: 1-line block ×8, first 2 shown]
	v_fma_f64 v[176:177], v[90:91], s[24:25], -v[176:177]
	v_fma_f64 v[184:185], v[90:91], s[26:27], -v[184:185]
	v_add_f64_e32 v[125:126], v[125:126], v[168:169]
	v_add_f64_e64 v[117:118], v[166:167], -v[117:118]
	v_add_f64_e64 v[105:106], v[162:163], -v[105:106]
	v_mul_f64_e32 v[224:225], s[0:1], v[145:146]
	v_mul_f64_e32 v[226:227], s[24:25], v[145:146]
	;; [unrolled: 1-line block ×5, first 2 shown]
	v_fma_f64 v[250:251], v[103:104], s[34:35], v[210:211]
	v_fma_f64 v[252:253], v[127:128], s[10:11], v[212:213]
	;; [unrolled: 1-line block ×3, first 2 shown]
	v_fma_f64 v[210:211], v[103:104], s[34:35], -v[210:211]
	v_add_f64_e32 v[111:112], v[111:112], v[164:165]
	v_add_f64_e32 v[143:144], v[143:144], v[180:181]
	v_mul_f64_e32 v[168:169], s[38:39], v[82:83]
	v_mul_f64_e32 v[166:167], s[36:37], v[133:134]
	v_add_f64_e32 v[137:138], v[137:138], v[172:173]
	v_mul_f64_e32 v[172:173], s[14:15], v[109:110]
	v_add_f64_e64 v[139:140], v[178:179], -v[139:140]
	v_add_f64_e64 v[135:136], v[170:171], -v[135:136]
	v_fma_f64 v[170:171], v[70:71], s[26:27], v[202:203]
	v_fma_f64 v[202:203], v[70:71], s[26:27], -v[202:203]
	v_add_f64_e32 v[131:132], v[131:132], v[192:193]
	v_mul_f64_e32 v[186:187], s[18:19], v[66:67]
	v_add_f64_e32 v[50:51], v[50:51], v[58:59]
	v_add_f64_e32 v[48:49], v[48:49], v[56:57]
	v_mul_f64_e32 v[56:57], s[0:1], v[90:91]
	v_mul_f64_e32 v[58:59], s[0:1], v[151:152]
	;; [unrolled: 1-line block ×3, first 2 shown]
	v_add_f64_e32 v[54:55], v[119:120], v[54:55]
	v_add_f64_e64 v[52:53], v[52:53], -v[115:116]
	v_fma_f64 v[115:116], v[127:128], s[22:23], v[196:197]
	v_fma_f64 v[119:120], v[101:102], s[10:11], v[198:199]
	v_add_f64_e32 v[162:163], v[26:27], v[236:237]
	v_add_f64_e32 v[238:239], v[24:25], v[238:239]
	;; [unrolled: 1-line block ×10, first 2 shown]
	v_fma_f64 v[236:237], v[70:71], s[0:1], v[208:209]
	v_fma_f64 v[208:209], v[70:71], s[0:1], -v[208:209]
	v_fma_f64 v[192:193], v[70:71], s[18:19], v[107:108]
	v_mul_f64_e32 v[220:221], s[26:27], v[129:130]
	v_mul_f64_e32 v[222:223], s[34:35], v[68:69]
	;; [unrolled: 1-line block ×4, first 2 shown]
	v_add_f64_e32 v[97:98], v[97:98], v[188:189]
	v_mul_f64_e32 v[180:181], s[16:17], v[64:65]
	v_mul_f64_e32 v[178:179], s[16:17], v[141:142]
	;; [unrolled: 1-line block ×5, first 2 shown]
	v_add_f64_e64 v[95:96], v[186:187], -v[95:96]
	v_add_f64_e32 v[46:47], v[50:51], v[46:47]
	v_add_f64_e32 v[44:45], v[48:49], v[44:45]
	v_mul_f64_e32 v[48:49], s[14:15], v[149:150]
	v_mul_f64_e32 v[149:150], s[30:31], v[149:150]
	v_fma_f64 v[248:249], v[93:94], s[36:37], v[151:152]
	v_fma_f64 v[93:94], v[93:94], s[30:31], v[151:152]
	v_add_f64_e32 v[58:59], v[123:124], v[58:59]
	v_add_f64_e64 v[56:57], v[56:57], -v[121:122]
	v_fma_f64 v[121:122], v[103:104], s[16:17], v[200:201]
	v_fma_f64 v[123:124], v[127:128], s[28:29], v[196:197]
	v_fma_f64 v[196:197], v[103:104], s[16:17], -v[200:201]
	v_fma_f64 v[200:201], v[101:102], s[30:31], v[206:207]
	v_fma_f64 v[206:207], v[101:102], s[36:37], v[206:207]
	v_mul_f64_e32 v[50:51], s[26:27], v[66:67]
	v_add_f64_e32 v[119:120], v[119:120], v[162:163]
	v_add_f64_e32 v[242:243], v[250:251], v[242:243]
	v_mul_f64_e32 v[162:163], s[14:15], v[133:134]
	v_mul_f64_e32 v[250:251], s[28:29], v[133:134]
	;; [unrolled: 1-line block ×3, first 2 shown]
	v_add_f64_e32 v[84:85], v[84:85], v[220:221]
	v_add_f64_e64 v[86:87], v[222:223], -v[86:87]
	v_add_f64_e32 v[88:89], v[88:89], v[228:229]
	v_add_f64_e64 v[80:81], v[194:195], -v[80:81]
	v_add_f64_e64 v[76:77], v[180:181], -v[76:77]
	v_add_f64_e32 v[78:79], v[78:79], v[178:179]
	v_add_f64_e32 v[74:75], v[74:75], v[234:235]
	v_add_f64_e64 v[72:73], v[232:233], -v[72:73]
	v_add_f64_e32 v[42:43], v[46:47], v[42:43]
	v_add_f64_e32 v[40:41], v[44:45], v[40:41]
	v_fma_f64 v[246:247], v[90:91], s[18:19], v[48:49]
	v_fma_f64 v[48:49], v[90:91], s[18:19], -v[48:49]
	v_fma_f64 v[151:152], v[90:91], s[34:35], v[149:150]
	v_fma_f64 v[90:91], v[90:91], s[34:35], -v[149:150]
	v_fma_f64 v[149:150], v[101:102], s[38:39], v[198:199]
	v_fma_f64 v[198:199], v[127:128], s[42:43], v[204:205]
	;; [unrolled: 1-line block ×3, first 2 shown]
	v_add_f64_e32 v[93:94], v[26:27], v[93:94]
	v_add_f64_e32 v[58:59], v[26:27], v[58:59]
	;; [unrolled: 1-line block ×7, first 2 shown]
	v_mul_f64_e32 v[240:241], s[42:43], v[82:83]
	v_fma_f64 v[54:55], v[113:114], s[42:43], v[224:225]
	v_add_f64_e32 v[176:177], v[196:197], v[176:177]
	v_add_f64_e32 v[182:183], v[206:207], v[182:183]
	v_mul_f64_e32 v[46:47], s[18:19], v[129:130]
	v_mul_f64_e32 v[238:239], s[38:39], v[109:110]
	v_mul_f64_e32 v[196:197], s[24:25], v[129:130]
	v_mul_f64_e32 v[206:207], s[6:7], v[109:110]
	v_mul_f64_e32 v[109:110], s[44:45], v[109:110]
	v_mul_f64_e32 v[44:45], s[34:35], v[141:142]
	v_add_f64_e32 v[38:39], v[42:43], v[38:39]
	v_add_f64_e32 v[36:37], v[40:41], v[36:37]
	v_fma_f64 v[40:41], v[103:104], s[26:27], v[218:219]
	v_fma_f64 v[42:43], v[127:128], s[38:39], v[212:213]
	;; [unrolled: 1-line block ×3, first 2 shown]
	v_fma_f64 v[214:215], v[103:104], s[26:27], -v[218:219]
	v_fma_f64 v[218:219], v[127:128], s[14:15], v[155:156]
	v_fma_f64 v[127:128], v[127:128], s[40:41], v[155:156]
	;; [unrolled: 1-line block ×5, first 2 shown]
	v_fma_f64 v[103:104], v[103:104], s[24:25], -v[147:148]
	v_add_f64_e32 v[90:91], v[24:25], v[90:91]
	v_add_f64_e32 v[48:49], v[24:25], v[48:49]
	;; [unrolled: 1-line block ×5, first 2 shown]
	v_mul_f64_e32 v[147:148], s[30:31], v[82:83]
	v_add_f64_e32 v[149:150], v[149:150], v[174:175]
	v_mul_f64_e32 v[82:83], s[44:45], v[82:83]
	v_add_f64_e32 v[58:59], v[125:126], v[58:59]
	v_add_f64_e32 v[56:57], v[117:118], v[56:57]
	v_fma_f64 v[52:53], v[113:114], s[6:7], v[224:225]
	v_fma_f64 v[224:225], v[113:114], s[20:21], v[226:227]
	;; [unrolled: 1-line block ×3, first 2 shown]
	v_add_f64_e32 v[117:118], v[254:255], v[244:245]
	v_add_f64_e32 v[26:27], v[111:112], v[26:27]
	v_fma_f64 v[111:112], v[68:69], s[18:19], v[172:173]
	v_mul_f64_e32 v[174:175], s[0:1], v[141:142]
	v_mul_f64_e32 v[141:142], s[26:27], v[141:142]
	v_add_f64_e32 v[34:35], v[38:39], v[34:35]
	v_add_f64_e32 v[32:33], v[36:37], v[32:33]
	v_fma_f64 v[36:37], v[113:114], s[36:37], v[230:231]
	v_fma_f64 v[38:39], v[113:114], s[30:31], v[230:231]
	v_add_f64_e32 v[190:191], v[212:213], v[190:191]
	v_fma_f64 v[230:231], v[113:114], s[10:11], v[145:146]
	v_fma_f64 v[113:114], v[113:114], s[38:39], v[145:146]
	;; [unrolled: 1-line block ×3, first 2 shown]
	v_fma_f64 v[216:217], v[70:71], s[16:17], -v[216:217]
	v_add_f64_e32 v[93:94], v[101:102], v[93:94]
	v_fma_f64 v[70:71], v[70:71], s[18:19], -v[107:108]
	v_add_f64_e32 v[155:156], v[155:156], v[248:249]
	v_add_f64_e32 v[90:91], v[103:104], v[90:91]
	;; [unrolled: 1-line block ×7, first 2 shown]
	v_mul_f64_e32 v[107:108], s[16:17], v[129:130]
	v_mul_f64_e32 v[129:130], s[0:1], v[129:130]
	v_fma_f64 v[125:126], v[66:67], s[34:35], v[147:148]
	v_fma_f64 v[105:106], v[64:65], s[34:35], v[166:167]
	v_fma_f64 v[153:154], v[68:69], s[18:19], -v[172:173]
	v_fma_f64 v[172:173], v[66:67], s[24:25], v[82:83]
	v_add_f64_e32 v[58:59], v[143:144], v[58:59]
	v_add_f64_e32 v[56:57], v[139:140], v[56:57]
	;; [unrolled: 1-line block ×3, first 2 shown]
	v_fma_f64 v[101:102], v[62:63], s[40:41], v[46:47]
	v_fma_f64 v[46:47], v[62:63], s[14:15], v[46:47]
	;; [unrolled: 1-line block ×6, first 2 shown]
	v_add_f64_e32 v[30:31], v[34:35], v[30:31]
	v_add_f64_e32 v[28:29], v[32:33], v[28:29]
	v_fma_f64 v[32:33], v[66:67], s[34:35], -v[147:148]
	v_add_f64_e64 v[34:35], v[50:51], -v[99:100]
	v_fma_f64 v[50:51], v[66:67], s[16:17], v[168:169]
	v_fma_f64 v[99:100], v[66:67], s[16:17], -v[168:169]
	v_fma_f64 v[147:148], v[64:65], s[34:35], -v[166:167]
	v_fma_f64 v[166:167], v[66:67], s[0:1], v[240:241]
	v_fma_f64 v[168:169], v[66:67], s[0:1], -v[240:241]
	v_fma_f64 v[66:67], v[66:67], s[24:25], -v[82:83]
	v_add_f64_e32 v[82:83], v[115:116], v[119:120]
	v_add_f64_e32 v[115:116], v[170:171], v[121:122]
	;; [unrolled: 1-line block ×17, first 2 shown]
	v_fma_f64 v[143:144], v[62:63], s[42:43], v[129:130]
	v_add_f64_e32 v[58:59], v[131:132], v[58:59]
	v_fma_f64 v[135:136], v[68:69], s[16:17], -v[238:239]
	v_fma_f64 v[145:146], v[68:69], s[0:1], v[206:207]
	v_fma_f64 v[151:152], v[68:69], s[24:25], v[109:110]
	v_add_f64_e32 v[26:27], v[97:98], v[26:27]
	v_fma_f64 v[97:98], v[60:61], s[42:43], v[174:175]
	v_add_f64_e32 v[22:23], v[30:31], v[22:23]
	v_add_f64_e32 v[20:21], v[28:29], v[20:21]
	v_fma_f64 v[28:29], v[62:63], s[10:11], v[107:108]
	v_fma_f64 v[30:31], v[68:69], s[16:17], v[238:239]
	;; [unrolled: 1-line block ×4, first 2 shown]
	v_add_f64_e32 v[34:35], v[34:35], v[56:57]
	v_fma_f64 v[129:130], v[68:69], s[0:1], -v[206:207]
	v_fma_f64 v[68:69], v[68:69], s[24:25], -v[109:110]
	v_add_f64_e32 v[52:53], v[52:53], v[82:83]
	v_add_f64_e32 v[82:83], v[166:167], v[115:116]
	;; [unrolled: 1-line block ×17, first 2 shown]
	v_fma_f64 v[70:71], v[64:65], s[18:19], v[162:163]
	v_add_f64_e32 v[58:59], v[88:89], v[58:59]
	v_fma_f64 v[90:91], v[60:61], s[14:15], v[164:165]
	v_fma_f64 v[95:96], v[60:61], s[6:7], v[174:175]
	;; [unrolled: 1-line block ×3, first 2 shown]
	v_fma_f64 v[113:114], v[64:65], s[26:27], -v[250:251]
	v_fma_f64 v[93:94], v[64:65], s[18:19], -v[162:163]
	v_fma_f64 v[103:104], v[64:65], s[26:27], v[250:251]
	v_fma_f64 v[117:118], v[64:65], s[0:1], v[133:134]
	v_fma_f64 v[64:65], v[64:65], s[0:1], -v[133:134]
	v_add_f64_e32 v[84:85], v[84:85], v[26:27]
	v_add_f64_e32 v[18:19], v[22:23], v[18:19]
	;; [unrolled: 1-line block ×3, first 2 shown]
	v_fma_f64 v[20:21], v[60:61], s[40:41], v[164:165]
	v_fma_f64 v[60:61], v[60:61], s[28:29], v[141:142]
	v_add_f64_e32 v[22:23], v[101:102], v[52:53]
	v_add_f64_e32 v[52:53], v[111:112], v[82:83]
	;; [unrolled: 1-line block ×40, first 2 shown]
	v_and_b32_e32 v52, 0xffff, v160
	s_delay_alu instid0(VALU_DEP_1)
	v_add_lshl_u32 v52, v161, v52, 4
	v_add_f64_e32 v[10:11], v[88:89], v[10:11]
	v_add_f64_e32 v[8:9], v[101:102], v[8:9]
	ds_store_b128 v52, v[36:39] offset:32
	ds_store_b128 v52, v[32:35] offset:48
	;; [unrolled: 1-line block ×11, first 2 shown]
	ds_store_b128 v52, v[8:11]
	ds_store_b128 v52, v[0:3] offset:192
.LBB0_7:
	s_or_b32 exec_lo, exec_lo, s33
	v_mul_u32_u24_e32 v8, 10, v158
	s_load_b128 s[0:3], s[2:3], 0x0
	global_wb scope:SCOPE_SE
	s_wait_dscnt 0x0
	s_wait_kmcnt 0x0
	s_barrier_signal -1
	s_barrier_wait -1
	v_lshlrev_b32_e32 v12, 4, v8
	global_inv scope:SCOPE_SE
	v_add_lshl_u32 v98, v161, v158, 4
	s_mov_b32 s22, 0xf8bb580b
	s_mov_b32 s20, 0x43842ef
	s_clause 0x9
	global_load_b128 v[40:43], v12, s[4:5]
	global_load_b128 v[8:11], v12, s[4:5] offset:144
	global_load_b128 v[44:47], v12, s[4:5] offset:16
	;; [unrolled: 1-line block ×9, first 2 shown]
	ds_load_b128 v[52:55], v98 offset:208
	ds_load_b128 v[48:51], v98
	ds_load_b128 v[56:59], v98 offset:2080
	ds_load_b128 v[60:63], v98 offset:416
	ds_load_b128 v[64:67], v98 offset:1872
	ds_load_b128 v[68:71], v98 offset:624
	ds_load_b128 v[72:75], v98 offset:1664
	ds_load_b128 v[76:79], v98 offset:1456
	ds_load_b128 v[80:83], v98 offset:832
	ds_load_b128 v[84:87], v98 offset:1040
	ds_load_b128 v[88:91], v98 offset:1248
	s_mov_b32 s24, 0xbb3a28a1
	s_mov_b32 s26, 0xfd768dbf
	s_mov_b32 s23, 0xbfe14ced
	s_mov_b32 s19, 0xbfed1bb4
	s_mov_b32 s18, 0x8eee2c13
	s_mov_b32 s21, 0xbfefac9e
	s_mov_b32 s25, 0xbfe82f19
	s_mov_b32 s27, 0xbfd207e7
	s_mov_b32 s4, 0x8764f0ba
	s_mov_b32 s6, 0xd9c712b6
	s_mov_b32 s10, 0x640f44db
	s_mov_b32 s14, 0x7f775887
	s_mov_b32 s16, 0x9bcd5057
	s_mov_b32 s5, 0x3feaeb8c
	s_mov_b32 s7, 0x3fda9628
	s_mov_b32 s11, 0xbfc2375f
	s_mov_b32 s15, 0xbfe4f49e
	s_mov_b32 s17, 0xbfeeb42a
	s_mov_b32 s31, 0x3fd207e7
	s_mov_b32 s35, 0x3fefac9e
	s_mov_b32 s29, 0x3fe14ced
	s_wait_alu 0xfffe
	s_mov_b32 s30, s26
	s_mov_b32 s34, s20
	;; [unrolled: 1-line block ×3, first 2 shown]
	v_lshl_add_u32 v97, v158, 4, v159
	s_wait_loadcnt_dscnt 0x90a
	v_mul_f64_e32 v[93:94], v[54:55], v[42:43]
	v_mul_f64_e32 v[95:96], v[52:53], v[42:43]
	s_wait_loadcnt_dscnt 0x808
	v_mul_f64_e32 v[99:100], v[56:57], v[10:11]
	v_mul_f64_e32 v[101:102], v[58:59], v[10:11]
	;; [unrolled: 3-line block ×6, first 2 shown]
	v_mul_f64_e32 v[119:120], v[72:73], v[30:31]
	v_mul_f64_e32 v[121:122], v[74:75], v[30:31]
	;; [unrolled: 1-line block ×6, first 2 shown]
	s_wait_loadcnt_dscnt 0x0
	v_mul_f64_e32 v[135:136], v[90:91], v[14:15]
	v_mul_f64_e32 v[137:138], v[88:89], v[14:15]
	v_fma_f64 v[111:112], v[52:53], v[40:41], -v[93:94]
	v_fma_f64 v[113:114], v[54:55], v[40:41], v[95:96]
	v_fma_f64 v[93:94], v[58:59], v[8:9], v[99:100]
	v_fma_f64 v[95:96], v[56:57], v[8:9], -v[101:102]
	v_fma_f64 v[99:100], v[60:61], v[44:45], -v[103:104]
	v_fma_f64 v[101:102], v[62:63], v[44:45], v[105:106]
	v_fma_f64 v[52:53], v[66:67], v[32:33], v[107:108]
	v_fma_f64 v[54:55], v[64:65], v[32:33], -v[109:110]
	v_fma_f64 v[107:108], v[68:69], v[36:37], -v[115:116]
	v_fma_f64 v[109:110], v[70:71], v[36:37], v[117:118]
	v_fma_f64 v[68:69], v[84:85], v[16:17], -v[131:132]
	v_fma_f64 v[70:71], v[86:87], v[16:17], v[133:134]
	v_fma_f64 v[56:57], v[74:75], v[28:29], v[119:120]
	v_fma_f64 v[58:59], v[72:73], v[28:29], -v[121:122]
	v_fma_f64 v[72:73], v[80:81], v[24:25], -v[123:124]
	v_fma_f64 v[74:75], v[82:83], v[24:25], v[125:126]
	v_fma_f64 v[60:61], v[76:77], v[20:21], -v[127:128]
	v_fma_f64 v[62:63], v[78:79], v[20:21], v[129:130]
	v_fma_f64 v[64:65], v[88:89], v[12:13], -v[135:136]
	v_fma_f64 v[66:67], v[90:91], v[12:13], v[137:138]
	v_add_f64_e32 v[103:104], v[48:49], v[111:112]
	v_add_f64_e32 v[105:106], v[50:51], v[113:114]
	v_add_f64_e64 v[76:77], v[113:114], -v[93:94]
	v_add_f64_e64 v[78:79], v[111:112], -v[95:96]
	v_add_f64_e64 v[80:81], v[101:102], -v[52:53]
	v_add_f64_e64 v[82:83], v[99:100], -v[54:55]
	v_add_f64_e64 v[88:89], v[109:110], -v[56:57]
	v_add_f64_e64 v[90:91], v[107:108], -v[58:59]
	v_add_f64_e32 v[115:116], v[72:73], v[60:61]
	v_add_f64_e64 v[117:118], v[74:75], -v[62:63]
	v_add_f64_e64 v[119:120], v[72:73], -v[60:61]
	v_add_f64_e32 v[121:122], v[74:75], v[62:63]
	v_add_f64_e32 v[123:124], v[68:69], v[64:65]
	;; [unrolled: 1-line block ×3, first 2 shown]
	v_add_f64_e64 v[127:128], v[68:69], -v[64:65]
	v_add_f64_e64 v[129:130], v[70:71], -v[66:67]
	v_add_f64_e32 v[84:85], v[103:104], v[99:100]
	v_add_f64_e32 v[86:87], v[105:106], v[101:102]
	;; [unrolled: 1-line block ×4, first 2 shown]
	v_mul_f64_e32 v[131:132], s[22:23], v[76:77]
	v_mul_f64_e32 v[133:134], s[22:23], v[78:79]
	;; [unrolled: 1-line block ×10, first 2 shown]
	v_add_f64_e32 v[99:100], v[99:100], v[54:55]
	v_add_f64_e32 v[101:102], v[101:102], v[52:53]
	;; [unrolled: 1-line block ×4, first 2 shown]
	v_mul_f64_e32 v[147:148], s[18:19], v[80:81]
	v_mul_f64_e32 v[149:150], s[18:19], v[82:83]
	;; [unrolled: 1-line block ×4, first 2 shown]
	s_wait_alu 0xfffe
	v_mul_f64_e32 v[155:156], s[30:31], v[80:81]
	v_mul_f64_e32 v[161:162], s[34:35], v[82:83]
	s_mov_b32 s19, 0x3fed1bb4
	v_mul_f64_e32 v[163:164], s[20:21], v[88:89]
	v_mul_f64_e32 v[165:166], s[20:21], v[90:91]
	;; [unrolled: 1-line block ×8, first 2 shown]
	s_wait_alu 0xfffe
	v_mul_f64_e32 v[88:89], s[18:19], v[88:89]
	v_mul_f64_e32 v[90:91], s[18:19], v[90:91]
	;; [unrolled: 1-line block ×5, first 2 shown]
	v_add_f64_e32 v[84:85], v[84:85], v[107:108]
	v_add_f64_e32 v[86:87], v[86:87], v[109:110]
	v_mul_f64_e32 v[107:108], s[30:31], v[82:83]
	v_mul_f64_e32 v[109:110], s[34:35], v[80:81]
	;; [unrolled: 1-line block ×4, first 2 shown]
	v_fma_f64 v[211:212], v[103:104], s[6:7], -v[135:136]
	v_fma_f64 v[213:214], v[105:106], s[6:7], v[137:138]
	v_fma_f64 v[135:136], v[103:104], s[6:7], v[135:136]
	v_fma_f64 v[137:138], v[105:106], s[6:7], -v[137:138]
	v_fma_f64 v[215:216], v[103:104], s[10:11], -v[139:140]
	v_fma_f64 v[217:218], v[105:106], s[10:11], v[141:142]
	v_fma_f64 v[139:140], v[103:104], s[10:11], v[139:140]
	v_fma_f64 v[141:142], v[105:106], s[10:11], -v[141:142]
	;; [unrolled: 4-line block ×6, first 2 shown]
	v_mul_f64_e32 v[185:186], s[34:35], v[119:120]
	v_mul_f64_e32 v[187:188], s[22:23], v[117:118]
	;; [unrolled: 1-line block ×8, first 2 shown]
	v_add_f64_e32 v[72:73], v[84:85], v[72:73]
	v_add_f64_e32 v[74:75], v[86:87], v[74:75]
	v_fma_f64 v[84:85], v[103:104], s[4:5], -v[131:132]
	v_fma_f64 v[86:87], v[105:106], s[4:5], v[133:134]
	v_fma_f64 v[131:132], v[103:104], s[4:5], v[131:132]
	v_fma_f64 v[133:134], v[105:106], s[4:5], -v[133:134]
	v_fma_f64 v[103:104], v[99:100], s[6:7], -v[147:148]
	v_fma_f64 v[105:106], v[101:102], s[6:7], v[149:150]
	v_fma_f64 v[147:148], v[99:100], s[6:7], v[147:148]
	v_fma_f64 v[149:150], v[101:102], s[6:7], -v[149:150]
	v_fma_f64 v[233:234], v[101:102], s[16:17], v[107:108]
	v_fma_f64 v[107:108], v[101:102], s[16:17], -v[107:108]
	v_fma_f64 v[235:236], v[99:100], s[10:11], -v[109:110]
	v_fma_f64 v[109:110], v[99:100], s[10:11], v[109:110]
	v_add_f64_e32 v[211:212], v[48:49], v[211:212]
	v_add_f64_e32 v[213:214], v[50:51], v[213:214]
	;; [unrolled: 1-line block ×13, first 2 shown]
	v_fma_f64 v[239:240], v[111:112], s[16:17], -v[167:168]
	v_fma_f64 v[241:242], v[113:114], s[16:17], v[169:170]
	v_fma_f64 v[167:168], v[111:112], s[16:17], v[167:168]
	v_fma_f64 v[169:170], v[113:114], s[16:17], -v[169:170]
	v_fma_f64 v[243:244], v[111:112], s[4:5], -v[171:172]
	v_fma_f64 v[171:172], v[111:112], s[4:5], v[171:172]
	v_fma_f64 v[245:246], v[111:112], s[14:15], -v[175:176]
	v_fma_f64 v[175:176], v[111:112], s[14:15], v[175:176]
	;; [unrolled: 2-line block ×3, first 2 shown]
	v_mul_f64_e32 v[197:198], s[26:27], v[127:128]
	v_add_f64_e32 v[68:69], v[72:73], v[68:69]
	v_add_f64_e32 v[70:71], v[74:75], v[70:71]
	v_fma_f64 v[72:73], v[99:100], s[4:5], -v[80:81]
	v_fma_f64 v[74:75], v[101:102], s[4:5], v[82:83]
	v_fma_f64 v[80:81], v[99:100], s[4:5], v[80:81]
	v_fma_f64 v[82:83], v[101:102], s[4:5], -v[82:83]
	v_add_f64_e32 v[84:85], v[48:49], v[84:85]
	v_add_f64_e32 v[131:132], v[48:49], v[131:132]
	v_add_f64_e32 v[133:134], v[50:51], v[133:134]
	v_add_f64_e32 v[48:49], v[48:49], v[76:77]
	v_add_f64_e32 v[76:77], v[50:51], v[78:79]
	v_add_f64_e32 v[78:79], v[50:51], v[145:146]
	v_add_f64_e32 v[50:51], v[50:51], v[86:87]
	v_fma_f64 v[99:100], v[111:112], s[10:11], -v[163:164]
	v_fma_f64 v[101:102], v[113:114], s[10:11], v[165:166]
	v_fma_f64 v[163:164], v[111:112], s[10:11], v[163:164]
	v_fma_f64 v[165:166], v[113:114], s[10:11], -v[165:166]
	v_fma_f64 v[86:87], v[113:114], s[14:15], v[177:178]
	v_fma_f64 v[145:146], v[113:114], s[14:15], -v[177:178]
	;; [unrolled: 2-line block ×3, first 2 shown]
	v_add_f64_e32 v[135:136], v[151:152], v[135:136]
	v_add_f64_e32 v[139:140], v[155:156], v[139:140]
	;; [unrolled: 1-line block ×5, first 2 shown]
	v_mul_f64_e32 v[199:200], s[28:29], v[129:130]
	v_mul_f64_e32 v[201:202], s[28:29], v[127:128]
	;; [unrolled: 1-line block ×8, first 2 shown]
	v_fma_f64 v[177:178], v[121:122], s[14:15], v[181:182]
	v_fma_f64 v[181:182], v[121:122], s[14:15], -v[181:182]
	v_fma_f64 v[247:248], v[115:116], s[10:11], -v[183:184]
	v_fma_f64 v[249:250], v[121:122], s[10:11], v[185:186]
	v_add_f64_e32 v[64:65], v[68:69], v[64:65]
	v_add_f64_e32 v[66:67], v[70:71], v[66:67]
	v_fma_f64 v[68:69], v[113:114], s[4:5], v[173:174]
	v_fma_f64 v[70:71], v[113:114], s[4:5], -v[173:174]
	v_add_f64_e32 v[72:73], v[72:73], v[223:224]
	v_add_f64_e32 v[74:75], v[74:75], v[225:226]
	;; [unrolled: 1-line block ×15, first 2 shown]
	v_fma_f64 v[173:174], v[115:116], s[14:15], -v[179:180]
	v_fma_f64 v[179:180], v[115:116], s[14:15], v[179:180]
	v_fma_f64 v[183:184], v[115:116], s[10:11], v[183:184]
	v_fma_f64 v[185:186], v[121:122], s[10:11], -v[185:186]
	v_fma_f64 v[105:106], v[115:116], s[4:5], v[187:188]
	v_fma_f64 v[107:108], v[121:122], s[4:5], -v[189:190]
	v_fma_f64 v[137:138], v[115:116], s[16:17], -v[191:192]
	v_fma_f64 v[141:142], v[121:122], s[16:17], v[193:194]
	v_fma_f64 v[143:144], v[115:116], s[16:17], v[191:192]
	v_fma_f64 v[153:154], v[121:122], s[16:17], -v[193:194]
	v_fma_f64 v[161:162], v[123:124], s[16:17], -v[195:196]
	;; [unrolled: 1-line block ×3, first 2 shown]
	v_add_f64_e32 v[88:89], v[88:89], v[139:140]
	v_add_f64_e32 v[109:110], v[171:172], v[109:110]
	v_fma_f64 v[191:192], v[125:126], s[16:17], -v[197:198]
	v_fma_f64 v[139:140], v[125:126], s[14:15], -v[205:206]
	v_add_f64_e32 v[60:61], v[64:65], v[60:61]
	v_add_f64_e32 v[62:63], v[66:67], v[62:63]
	v_fma_f64 v[64:65], v[115:116], s[4:5], -v[187:188]
	v_fma_f64 v[66:67], v[121:122], s[4:5], v[189:190]
	v_fma_f64 v[189:190], v[123:124], s[16:17], v[195:196]
	;; [unrolled: 1-line block ×4, first 2 shown]
	v_fma_f64 v[117:118], v[121:122], s[6:7], -v[119:120]
	v_add_f64_e32 v[84:85], v[99:100], v[84:85]
	v_add_f64_e32 v[99:100], v[163:164], v[103:104]
	;; [unrolled: 1-line block ×18, first 2 shown]
	v_fma_f64 v[187:188], v[125:126], s[16:17], v[197:198]
	v_fma_f64 v[82:83], v[123:124], s[4:5], v[199:200]
	v_fma_f64 v[101:102], v[125:126], s[4:5], -v[201:202]
	v_fma_f64 v[86:87], v[123:124], s[14:15], -v[203:204]
	v_fma_f64 v[90:91], v[125:126], s[14:15], v[205:206]
	v_fma_f64 v[135:136], v[123:124], s[14:15], v[203:204]
	v_fma_f64 v[145:146], v[123:124], s[10:11], -v[207:208]
	v_fma_f64 v[147:148], v[125:126], s[10:11], v[209:210]
	v_fma_f64 v[149:150], v[123:124], s[10:11], v[207:208]
	v_fma_f64 v[151:152], v[125:126], s[10:11], -v[209:210]
	v_fma_f64 v[155:156], v[123:124], s[6:7], -v[129:130]
	v_fma_f64 v[163:164], v[125:126], s[6:7], v[127:128]
	v_add_f64_e32 v[58:59], v[60:61], v[58:59]
	v_add_f64_e32 v[56:57], v[62:63], v[56:57]
	v_fma_f64 v[60:61], v[123:124], s[4:5], -v[199:200]
	v_fma_f64 v[62:63], v[125:126], s[4:5], v[201:202]
	v_fma_f64 v[123:124], v[123:124], s[6:7], v[129:130]
	v_fma_f64 v[125:126], v[125:126], s[6:7], -v[127:128]
	v_add_f64_e32 v[88:89], v[105:106], v[88:89]
	v_add_f64_e32 v[109:110], v[143:144], v[109:110]
	;; [unrolled: 1-line block ×44, first 2 shown]
	ds_store_b128 v97, v[56:59] offset:416
	ds_store_b128 v97, v[60:63] offset:624
	;; [unrolled: 1-line block ×10, first 2 shown]
	ds_store_b128 v97, v[48:51]
	global_wb scope:SCOPE_SE
	s_wait_dscnt 0x0
	s_barrier_signal -1
	s_barrier_wait -1
	global_inv scope:SCOPE_SE
	s_and_saveexec_b32 s6, vcc_lo
	s_cbranch_execz .LBB0_9
; %bb.8:
	s_add_nc_u64 s[4:5], s[8:9], 0x8f0
	s_clause 0xc
	global_load_b128 v[93:96], v157, s[8:9] offset:2288
	global_load_b128 v[99:102], v157, s[4:5] offset:176
	;; [unrolled: 1-line block ×13, first 2 shown]
	ds_load_b128 v[147:150], v97
	ds_load_b128 v[151:154], v97 offset:176
	ds_load_b128 v[161:164], v97 offset:352
	;; [unrolled: 1-line block ×12, first 2 shown]
	s_wait_loadcnt_dscnt 0xc0c
	v_mul_f64_e32 v[155:156], v[149:150], v[95:96]
	v_mul_f64_e32 v[95:96], v[147:148], v[95:96]
	s_wait_loadcnt_dscnt 0xb0b
	v_mul_f64_e32 v[205:206], v[153:154], v[101:102]
	v_mul_f64_e32 v[101:102], v[151:152], v[101:102]
	;; [unrolled: 3-line block ×13, first 2 shown]
	v_fma_f64 v[145:146], v[147:148], v[93:94], -v[155:156]
	v_fma_f64 v[147:148], v[149:150], v[93:94], v[95:96]
	v_fma_f64 v[93:94], v[151:152], v[99:100], -v[205:206]
	v_fma_f64 v[95:96], v[153:154], v[99:100], v[101:102]
	;; [unrolled: 2-line block ×13, first 2 shown]
	ds_store_b128 v97, v[145:148]
	ds_store_b128 v97, v[93:96] offset:176
	ds_store_b128 v97, v[99:102] offset:352
	ds_store_b128 v97, v[103:106] offset:528
	ds_store_b128 v97, v[107:110] offset:704
	ds_store_b128 v97, v[111:114] offset:880
	ds_store_b128 v97, v[115:118] offset:1056
	ds_store_b128 v97, v[119:122] offset:1232
	ds_store_b128 v97, v[123:126] offset:1408
	ds_store_b128 v97, v[127:130] offset:1584
	ds_store_b128 v97, v[131:134] offset:1760
	ds_store_b128 v97, v[135:138] offset:1936
	ds_store_b128 v97, v[139:142] offset:2112
.LBB0_9:
	s_wait_alu 0xfffe
	s_or_b32 exec_lo, exec_lo, s6
	global_wb scope:SCOPE_SE
	s_wait_dscnt 0x0
	s_barrier_signal -1
	s_barrier_wait -1
	global_inv scope:SCOPE_SE
	s_and_saveexec_b32 s4, vcc_lo
	s_cbranch_execz .LBB0_11
; %bb.10:
	ds_load_b128 v[48:51], v97
	ds_load_b128 v[52:55], v97 offset:176
	ds_load_b128 v[56:59], v97 offset:352
	;; [unrolled: 1-line block ×12, first 2 shown]
.LBB0_11:
	s_wait_alu 0xfffe
	s_or_b32 exec_lo, exec_lo, s4
	global_wb scope:SCOPE_SE
	s_wait_dscnt 0x0
	s_barrier_signal -1
	s_barrier_wait -1
	global_inv scope:SCOPE_SE
	s_and_saveexec_b32 s33, vcc_lo
	s_cbranch_execz .LBB0_13
; %bb.12:
	v_add_f64_e32 v[93:94], v[50:51], v[54:55]
	v_add_f64_e32 v[95:96], v[48:49], v[52:53]
	v_add_f64_e64 v[111:112], v[68:69], -v[72:73]
	v_add_f64_e64 v[113:114], v[70:71], -v[74:75]
	;; [unrolled: 1-line block ×3, first 2 shown]
	v_add_f64_e32 v[117:118], v[60:61], v[64:65]
	v_add_f64_e64 v[119:120], v[56:57], -v[4:5]
	v_add_f64_e64 v[121:122], v[58:59], -v[6:7]
	v_add_f64_e32 v[123:124], v[58:59], v[6:7]
	v_add_f64_e32 v[125:126], v[56:57], v[4:5]
	s_mov_b32 s37, 0x3fddbe06
	s_mov_b32 s36, 0x4267c47c
	;; [unrolled: 1-line block ×14, first 2 shown]
	s_wait_alu 0xfffe
	s_mov_b32 s26, s34
	s_mov_b32 s24, s30
	;; [unrolled: 1-line block ×14, first 2 shown]
	v_add_f64_e32 v[93:94], v[93:94], v[58:59]
	v_add_f64_e32 v[95:96], v[95:96], v[56:57]
	v_add_f64_e64 v[56:57], v[52:53], -v[0:1]
	v_mul_f64_e32 v[103:104], s[36:37], v[111:112]
	v_mul_f64_e32 v[105:106], s[36:37], v[113:114]
	v_add_f64_e64 v[58:59], v[54:55], -v[2:3]
	v_add_f64_e32 v[54:55], v[54:55], v[2:3]
	v_add_f64_e32 v[52:53], v[52:53], v[0:1]
	s_mov_b32 s39, 0x3fe5384d
	s_mov_b32 s38, s6
	v_add_f64_e32 v[93:94], v[93:94], v[62:63]
	v_add_f64_e32 v[95:96], v[95:96], v[60:61]
	s_wait_alu 0xfffe
	v_mul_f64_e32 v[127:128], s[26:27], v[56:57]
	v_mul_f64_e32 v[141:142], s[6:7], v[58:59]
	;; [unrolled: 1-line block ×5, first 2 shown]
	v_add_f64_e32 v[93:94], v[93:94], v[70:71]
	v_add_f64_e32 v[95:96], v[95:96], v[68:69]
	;; [unrolled: 1-line block ×3, first 2 shown]
	v_fma_f64 v[137:138], v[54:55], s[22:23], v[127:128]
	v_fma_f64 v[127:128], v[54:55], s[22:23], -v[127:128]
	v_fma_f64 v[151:152], v[52:53], s[16:17], -v[141:142]
	v_fma_f64 v[141:142], v[52:53], s[16:17], v[141:142]
	v_fma_f64 v[153:154], v[52:53], s[18:19], -v[143:144]
	v_fma_f64 v[143:144], v[52:53], s[18:19], v[143:144]
	;; [unrolled: 2-line block ×4, first 2 shown]
	v_add_f64_e32 v[93:94], v[93:94], v[82:83]
	v_add_f64_e32 v[95:96], v[95:96], v[80:81]
	;; [unrolled: 1-line block ×12, first 2 shown]
	v_add_f64_e64 v[95:96], v[88:89], -v[84:85]
	v_add_f64_e32 v[88:89], v[88:89], v[84:85]
	v_add_f64_e32 v[93:94], v[90:91], v[86:87]
	v_add_f64_e64 v[90:91], v[90:91], -v[86:87]
	v_add_f64_e32 v[99:100], v[99:100], v[86:87]
	v_add_f64_e32 v[101:102], v[101:102], v[84:85]
	;; [unrolled: 1-line block ×3, first 2 shown]
	v_add_f64_e64 v[82:83], v[82:83], -v[78:79]
	v_add_f64_e64 v[86:87], v[80:81], -v[76:77]
	v_add_f64_e32 v[80:81], v[80:81], v[76:77]
	v_mul_f64_e32 v[107:108], s[36:37], v[95:96]
	v_mul_f64_e32 v[109:110], s[36:37], v[90:91]
	;; [unrolled: 1-line block ×6, first 2 shown]
	v_add_f64_e32 v[78:79], v[99:100], v[78:79]
	v_add_f64_e32 v[99:100], v[101:102], v[76:77]
	;; [unrolled: 1-line block ×3, first 2 shown]
	v_mul_f64_e32 v[101:102], s[36:37], v[115:116]
	s_delay_alu instid0(VALU_DEP_4) | instskip(NEXT) | instid1(VALU_DEP_4)
	v_add_f64_e32 v[70:71], v[78:79], v[74:75]
	v_add_f64_e32 v[72:73], v[99:100], v[72:73]
	v_add_f64_e64 v[74:75], v[60:61], -v[64:65]
	v_add_f64_e32 v[78:79], v[62:63], v[66:67]
	s_delay_alu instid0(VALU_DEP_4) | instskip(NEXT) | instid1(VALU_DEP_4)
	v_add_f64_e32 v[60:61], v[70:71], v[66:67]
	v_add_f64_e32 v[62:63], v[72:73], v[64:65]
	v_mul_f64_e32 v[64:65], s[36:37], v[86:87]
	v_mul_f64_e32 v[66:67], s[36:37], v[82:83]
	v_mul_f64_e32 v[99:100], s[36:37], v[74:75]
	v_mul_f64_e32 v[70:71], s[10:11], v[56:57]
	v_mul_f64_e32 v[72:73], s[24:25], v[56:57]
	v_add_f64_e32 v[6:7], v[60:61], v[6:7]
	v_add_f64_e32 v[4:5], v[62:63], v[4:5]
	v_mul_f64_e32 v[60:61], s[36:37], v[119:120]
	v_mul_f64_e32 v[62:63], s[36:37], v[121:122]
	s_mov_b32 s37, 0xbfddbe06
	v_fma_f64 v[133:134], v[54:55], s[18:19], v[70:71]
	v_fma_f64 v[70:71], v[54:55], s[18:19], -v[70:71]
	v_fma_f64 v[135:136], v[54:55], s[20:21], v[72:73]
	v_fma_f64 v[72:73], v[54:55], s[20:21], -v[72:73]
	v_add_f64_e32 v[2:3], v[6:7], v[2:3]
	v_add_f64_e32 v[0:1], v[4:5], v[0:1]
	v_mul_f64_e32 v[4:5], s[4:5], v[56:57]
	v_mul_f64_e32 v[6:7], s[6:7], v[56:57]
	s_wait_alu 0xfffe
	v_mul_f64_e32 v[56:57], s[36:37], v[56:57]
	v_add_f64_e32 v[133:134], v[50:51], v[133:134]
	v_add_f64_e32 v[167:168], v[50:51], v[70:71]
	;; [unrolled: 1-line block ×6, first 2 shown]
	v_fma_f64 v[129:130], v[54:55], s[14:15], v[4:5]
	v_fma_f64 v[4:5], v[54:55], s[14:15], -v[4:5]
	v_fma_f64 v[131:132], v[54:55], s[16:17], v[6:7]
	v_fma_f64 v[6:7], v[54:55], s[16:17], -v[6:7]
	;; [unrolled: 2-line block ×3, first 2 shown]
	v_mul_f64_e32 v[56:57], s[4:5], v[58:59]
	v_mul_f64_e32 v[58:59], s[36:37], v[58:59]
	s_mov_b32 s37, 0x3fcea1e5
	s_mov_b32 s36, s4
	v_add_f64_e32 v[131:132], v[50:51], v[131:132]
	v_add_f64_e32 v[165:166], v[50:51], v[6:7]
	;; [unrolled: 1-line block ×3, first 2 shown]
	v_fma_f64 v[6:7], v[125:126], s[28:29], -v[62:63]
	v_fma_f64 v[149:150], v[52:53], s[14:15], -v[56:57]
	v_fma_f64 v[56:57], v[52:53], s[14:15], v[56:57]
	v_fma_f64 v[163:164], v[52:53], s[28:29], -v[58:59]
	v_fma_f64 v[52:53], v[52:53], s[28:29], v[58:59]
	v_add_f64_e32 v[58:59], v[50:51], v[129:130]
	v_fma_f64 v[62:63], v[125:126], s[28:29], v[62:63]
	v_add_f64_e32 v[129:130], v[48:49], v[149:150]
	v_add_f64_e32 v[149:150], v[50:51], v[4:5]
	;; [unrolled: 1-line block ×5, first 2 shown]
	v_fma_f64 v[4:5], v[123:124], s[28:29], v[60:61]
	v_mul_f64_e32 v[48:49], s[6:7], v[74:75]
	v_add_f64_e32 v[163:164], v[50:51], v[54:55]
	v_fma_f64 v[60:61], v[123:124], s[28:29], -v[60:61]
	v_add_f64_e32 v[6:7], v[6:7], v[129:130]
	v_add_f64_e32 v[56:57], v[62:63], v[56:57]
	;; [unrolled: 1-line block ×3, first 2 shown]
	v_fma_f64 v[50:51], v[78:79], s[16:17], v[48:49]
	v_fma_f64 v[48:49], v[78:79], s[16:17], -v[48:49]
	v_add_f64_e32 v[60:61], v[60:61], v[149:150]
	s_delay_alu instid0(VALU_DEP_3) | instskip(SKIP_1) | instid1(VALU_DEP_3)
	v_add_f64_e32 v[4:5], v[50:51], v[4:5]
	v_mul_f64_e32 v[50:51], s[6:7], v[115:116]
	v_add_f64_e32 v[48:49], v[48:49], v[60:61]
	v_mul_f64_e32 v[60:61], s[26:27], v[74:75]
	s_delay_alu instid0(VALU_DEP_3) | instskip(SKIP_1) | instid1(VALU_DEP_3)
	v_fma_f64 v[52:53], v[117:118], s[16:17], -v[50:51]
	v_fma_f64 v[50:51], v[117:118], s[16:17], v[50:51]
	v_fma_f64 v[62:63], v[78:79], s[22:23], v[60:61]
	v_fma_f64 v[60:61], v[78:79], s[22:23], -v[60:61]
	s_delay_alu instid0(VALU_DEP_4) | instskip(SKIP_3) | instid1(VALU_DEP_3)
	v_add_f64_e32 v[6:7], v[52:53], v[6:7]
	v_mul_f64_e32 v[52:53], s[34:35], v[111:112]
	v_add_f64_e32 v[50:51], v[50:51], v[56:57]
	v_mul_f64_e32 v[56:57], s[30:31], v[119:120]
	v_fma_f64 v[54:55], v[76:77], s[22:23], v[52:53]
	v_fma_f64 v[52:53], v[76:77], s[22:23], -v[52:53]
	s_delay_alu instid0(VALU_DEP_2) | instskip(SKIP_1) | instid1(VALU_DEP_3)
	v_add_f64_e32 v[4:5], v[54:55], v[4:5]
	v_mul_f64_e32 v[54:55], s[34:35], v[113:114]
	v_add_f64_e32 v[48:49], v[52:53], v[48:49]
	s_delay_alu instid0(VALU_DEP_2) | instskip(SKIP_2) | instid1(VALU_DEP_3)
	v_fma_f64 v[58:59], v[68:69], s[22:23], -v[54:55]
	v_fma_f64 v[52:53], v[68:69], s[22:23], v[54:55]
	v_fma_f64 v[54:55], v[88:89], s[20:21], v[175:176]
	v_add_f64_e32 v[6:7], v[58:59], v[6:7]
	v_mul_f64_e32 v[58:59], s[10:11], v[86:87]
	s_delay_alu instid0(VALU_DEP_4) | instskip(NEXT) | instid1(VALU_DEP_2)
	v_add_f64_e32 v[50:51], v[52:53], v[50:51]
	v_fma_f64 v[129:130], v[84:85], s[18:19], v[58:59]
	v_fma_f64 v[52:53], v[84:85], s[18:19], -v[58:59]
	v_mul_f64_e32 v[58:59], s[30:31], v[121:122]
	s_delay_alu instid0(VALU_DEP_3) | instskip(SKIP_1) | instid1(VALU_DEP_4)
	v_add_f64_e32 v[4:5], v[129:130], v[4:5]
	v_mul_f64_e32 v[129:130], s[10:11], v[82:83]
	v_add_f64_e32 v[48:49], v[52:53], v[48:49]
	s_delay_alu instid0(VALU_DEP_2) | instskip(SKIP_1) | instid1(VALU_DEP_2)
	v_fma_f64 v[52:53], v[80:81], s[18:19], v[129:130]
	v_fma_f64 v[171:172], v[80:81], s[18:19], -v[129:130]
	v_add_f64_e32 v[52:53], v[52:53], v[50:51]
	v_fma_f64 v[50:51], v[93:94], s[20:21], -v[173:174]
	s_delay_alu instid0(VALU_DEP_3) | instskip(SKIP_1) | instid1(VALU_DEP_3)
	v_add_f64_e32 v[171:172], v[171:172], v[6:7]
	v_fma_f64 v[6:7], v[93:94], s[20:21], v[173:174]
	v_add_f64_e32 v[50:51], v[50:51], v[48:49]
	v_add_f64_e32 v[48:49], v[54:55], v[52:53]
	v_fma_f64 v[52:53], v[123:124], s[20:21], v[56:57]
	v_fma_f64 v[54:55], v[125:126], s[20:21], -v[58:59]
	v_fma_f64 v[56:57], v[123:124], s[20:21], -v[56:57]
	v_fma_f64 v[58:59], v[125:126], s[20:21], v[58:59]
	v_add_f64_e32 v[6:7], v[6:7], v[4:5]
	v_fma_f64 v[4:5], v[88:89], s[20:21], -v[175:176]
	v_add_f64_e32 v[52:53], v[52:53], v[131:132]
	v_add_f64_e32 v[54:55], v[54:55], v[151:152]
	;; [unrolled: 1-line block ×4, first 2 shown]
	v_mul_f64_e32 v[151:152], s[10:11], v[95:96]
	v_add_f64_e32 v[4:5], v[4:5], v[171:172]
	v_mul_f64_e32 v[171:172], s[10:11], v[90:91]
	v_mul_f64_e32 v[141:142], s[24:25], v[113:114]
	;; [unrolled: 1-line block ×4, first 2 shown]
	v_add_f64_e32 v[52:53], v[62:63], v[52:53]
	v_mul_f64_e32 v[62:63], s[26:27], v[115:116]
	v_add_f64_e32 v[56:57], v[60:61], v[56:57]
	s_delay_alu instid0(VALU_DEP_2) | instskip(SKIP_2) | instid1(VALU_DEP_3)
	v_fma_f64 v[129:130], v[117:118], s[22:23], -v[62:63]
	v_fma_f64 v[60:61], v[117:118], s[22:23], v[62:63]
	v_fma_f64 v[62:63], v[88:89], s[18:19], v[171:172]
	v_add_f64_e32 v[54:55], v[129:130], v[54:55]
	s_wait_alu 0xfffe
	v_mul_f64_e32 v[129:130], s[36:37], v[111:112]
	s_delay_alu instid0(VALU_DEP_4) | instskip(NEXT) | instid1(VALU_DEP_2)
	v_add_f64_e32 v[58:59], v[60:61], v[58:59]
	v_fma_f64 v[131:132], v[76:77], s[14:15], v[129:130]
	v_fma_f64 v[60:61], v[76:77], s[14:15], -v[129:130]
	v_mul_f64_e32 v[129:130], s[38:39], v[119:120]
	s_delay_alu instid0(VALU_DEP_3) | instskip(SKIP_1) | instid1(VALU_DEP_4)
	v_add_f64_e32 v[52:53], v[131:132], v[52:53]
	v_mul_f64_e32 v[131:132], s[36:37], v[113:114]
	v_add_f64_e32 v[56:57], v[60:61], v[56:57]
	s_delay_alu instid0(VALU_DEP_2) | instskip(SKIP_2) | instid1(VALU_DEP_3)
	v_fma_f64 v[60:61], v[68:69], s[14:15], v[131:132]
	v_fma_f64 v[149:150], v[68:69], s[14:15], -v[131:132]
	v_mul_f64_e32 v[131:132], s[38:39], v[121:122]
	v_add_f64_e32 v[58:59], v[60:61], v[58:59]
	v_fma_f64 v[60:61], v[84:85], s[28:29], -v[64:65]
	s_delay_alu instid0(VALU_DEP_4)
	v_add_f64_e32 v[54:55], v[149:150], v[54:55]
	v_fma_f64 v[149:150], v[84:85], s[28:29], v[64:65]
	v_fma_f64 v[64:65], v[78:79], s[28:29], v[99:100]
	v_fma_f64 v[99:100], v[78:79], s[28:29], -v[99:100]
	v_add_f64_e32 v[56:57], v[60:61], v[56:57]
	v_fma_f64 v[60:61], v[80:81], s[28:29], v[66:67]
	v_add_f64_e32 v[52:53], v[149:150], v[52:53]
	v_fma_f64 v[149:150], v[80:81], s[28:29], -v[66:67]
	s_delay_alu instid0(VALU_DEP_3) | instskip(SKIP_1) | instid1(VALU_DEP_3)
	v_add_f64_e32 v[60:61], v[60:61], v[58:59]
	v_fma_f64 v[58:59], v[93:94], s[18:19], -v[151:152]
	v_add_f64_e32 v[149:150], v[149:150], v[54:55]
	v_fma_f64 v[54:55], v[93:94], s[18:19], v[151:152]
	v_mul_f64_e32 v[151:152], s[36:37], v[82:83]
	s_delay_alu instid0(VALU_DEP_4)
	v_add_f64_e32 v[58:59], v[58:59], v[56:57]
	v_add_f64_e32 v[56:57], v[62:63], v[60:61]
	v_fma_f64 v[60:61], v[123:124], s[16:17], v[129:130]
	v_fma_f64 v[62:63], v[125:126], s[16:17], -v[131:132]
	v_add_f64_e32 v[54:55], v[54:55], v[52:53]
	v_fma_f64 v[52:53], v[88:89], s[18:19], -v[171:172]
	v_mul_f64_e32 v[171:172], s[10:11], v[119:120]
	v_fma_f64 v[129:130], v[123:124], s[16:17], -v[129:130]
	v_fma_f64 v[131:132], v[125:126], s[16:17], v[131:132]
	v_add_f64_e32 v[60:61], v[60:61], v[133:134]
	v_add_f64_e32 v[62:63], v[62:63], v[153:154]
	v_mul_f64_e32 v[133:134], s[24:25], v[111:112]
	v_add_f64_e32 v[52:53], v[52:53], v[149:150]
	v_mul_f64_e32 v[149:150], s[36:37], v[86:87]
	v_mul_f64_e32 v[153:154], s[34:35], v[95:96]
	v_add_f64_e32 v[129:130], v[129:130], v[167:168]
	v_add_f64_e32 v[131:132], v[131:132], v[143:144]
	v_mul_f64_e32 v[95:96], s[4:5], v[95:96]
	v_add_f64_e32 v[60:61], v[64:65], v[60:61]
	v_fma_f64 v[64:65], v[117:118], s[28:29], -v[101:102]
	v_fma_f64 v[101:102], v[117:118], s[28:29], v[101:102]
	v_add_f64_e32 v[99:100], v[99:100], v[129:130]
	v_fma_f64 v[129:130], v[76:77], s[20:21], -v[133:134]
	s_delay_alu instid0(VALU_DEP_4)
	v_add_f64_e32 v[62:63], v[64:65], v[62:63]
	v_fma_f64 v[64:65], v[76:77], s[20:21], v[133:134]
	v_add_f64_e32 v[101:102], v[101:102], v[131:132]
	v_fma_f64 v[131:132], v[88:89], s[22:23], v[165:166]
	;; [unrolled: 2-line block ×3, first 2 shown]
	v_add_f64_e32 v[60:61], v[64:65], v[60:61]
	v_fma_f64 v[64:65], v[68:69], s[20:21], -v[141:142]
	s_delay_alu instid0(VALU_DEP_3) | instskip(SKIP_1) | instid1(VALU_DEP_3)
	v_add_f64_e32 v[101:102], v[129:130], v[101:102]
	v_fma_f64 v[129:130], v[84:85], s[14:15], -v[149:150]
	v_add_f64_e32 v[62:63], v[64:65], v[62:63]
	v_fma_f64 v[64:65], v[84:85], s[14:15], v[149:150]
	s_delay_alu instid0(VALU_DEP_3) | instskip(SKIP_1) | instid1(VALU_DEP_3)
	v_add_f64_e32 v[99:100], v[129:130], v[99:100]
	v_fma_f64 v[129:130], v[80:81], s[14:15], v[151:152]
	v_add_f64_e32 v[60:61], v[64:65], v[60:61]
	v_fma_f64 v[64:65], v[80:81], s[14:15], -v[151:152]
	s_delay_alu instid0(VALU_DEP_3) | instskip(SKIP_1) | instid1(VALU_DEP_3)
	v_add_f64_e32 v[129:130], v[129:130], v[101:102]
	v_fma_f64 v[101:102], v[93:94], s[22:23], -v[153:154]
	v_add_f64_e32 v[64:65], v[64:65], v[62:63]
	v_fma_f64 v[62:63], v[93:94], s[22:23], v[153:154]
	s_delay_alu instid0(VALU_DEP_3) | instskip(SKIP_1) | instid1(VALU_DEP_3)
	v_add_f64_e32 v[101:102], v[101:102], v[99:100]
	v_add_f64_e32 v[99:100], v[131:132], v[129:130]
	;; [unrolled: 1-line block ×3, first 2 shown]
	v_fma_f64 v[60:61], v[88:89], s[22:23], -v[165:166]
	s_delay_alu instid0(VALU_DEP_1) | instskip(SKIP_1) | instid1(VALU_DEP_1)
	v_add_f64_e32 v[60:61], v[60:61], v[64:65]
	v_fma_f64 v[64:65], v[123:124], s[18:19], -v[171:172]
	v_add_f64_e32 v[64:65], v[64:65], v[127:128]
	v_mul_f64_e32 v[127:128], s[10:11], v[121:122]
	s_delay_alu instid0(VALU_DEP_1) | instskip(SKIP_1) | instid1(VALU_DEP_2)
	v_fma_f64 v[66:67], v[125:126], s[18:19], v[127:128]
	v_fma_f64 v[127:128], v[125:126], s[18:19], -v[127:128]
	v_add_f64_e32 v[66:67], v[66:67], v[147:148]
	v_mul_f64_e32 v[147:148], s[4:5], v[74:75]
	s_delay_alu instid0(VALU_DEP_3) | instskip(NEXT) | instid1(VALU_DEP_2)
	v_add_f64_e32 v[127:128], v[127:128], v[145:146]
	v_fma_f64 v[173:174], v[78:79], s[14:15], -v[147:148]
	s_delay_alu instid0(VALU_DEP_1) | instskip(SKIP_1) | instid1(VALU_DEP_1)
	v_add_f64_e32 v[64:65], v[173:174], v[64:65]
	v_mul_f64_e32 v[173:174], s[4:5], v[115:116]
	v_fma_f64 v[175:176], v[117:118], s[14:15], v[173:174]
	s_delay_alu instid0(VALU_DEP_1) | instskip(SKIP_1) | instid1(VALU_DEP_1)
	v_add_f64_e32 v[66:67], v[175:176], v[66:67]
	v_mul_f64_e32 v[175:176], s[38:39], v[111:112]
	v_fma_f64 v[177:178], v[76:77], s[16:17], -v[175:176]
	s_delay_alu instid0(VALU_DEP_1) | instskip(SKIP_1) | instid1(VALU_DEP_1)
	v_add_f64_e32 v[64:65], v[177:178], v[64:65]
	v_mul_f64_e32 v[177:178], s[38:39], v[113:114]
	v_fma_f64 v[179:180], v[68:69], s[16:17], v[177:178]
	s_delay_alu instid0(VALU_DEP_1) | instskip(SKIP_1) | instid1(VALU_DEP_1)
	v_add_f64_e32 v[66:67], v[179:180], v[66:67]
	v_mul_f64_e32 v[179:180], s[30:31], v[86:87]
	v_fma_f64 v[181:182], v[84:85], s[20:21], -v[179:180]
	s_delay_alu instid0(VALU_DEP_1) | instskip(SKIP_3) | instid1(VALU_DEP_1)
	v_add_f64_e32 v[64:65], v[181:182], v[64:65]
	v_mul_f64_e32 v[181:182], s[30:31], v[82:83]
	s_mov_b32 s31, 0x3fedeba7
	s_mov_b32 s30, s10
	v_fma_f64 v[183:184], v[80:81], s[20:21], v[181:182]
	s_delay_alu instid0(VALU_DEP_1) | instskip(SKIP_2) | instid1(VALU_DEP_2)
	v_add_f64_e32 v[183:184], v[183:184], v[66:67]
	v_fma_f64 v[66:67], v[93:94], s[28:29], -v[107:108]
	v_fma_f64 v[107:108], v[93:94], s[28:29], v[107:108]
	v_add_f64_e32 v[66:67], v[66:67], v[64:65]
	v_fma_f64 v[64:65], v[88:89], s[28:29], v[109:110]
	s_delay_alu instid0(VALU_DEP_1) | instskip(SKIP_2) | instid1(VALU_DEP_2)
	v_add_f64_e32 v[64:65], v[64:65], v[183:184]
	v_mul_f64_e32 v[183:184], s[4:5], v[119:120]
	v_mul_f64_e32 v[119:120], s[26:27], v[119:120]
	v_fma_f64 v[185:186], v[123:124], s[14:15], -v[183:184]
	v_fma_f64 v[129:130], v[123:124], s[14:15], v[183:184]
	s_delay_alu instid0(VALU_DEP_2) | instskip(SKIP_1) | instid1(VALU_DEP_3)
	v_add_f64_e32 v[70:71], v[185:186], v[70:71]
	v_mul_f64_e32 v[185:186], s[4:5], v[121:122]
	v_add_f64_e32 v[129:130], v[129:130], v[135:136]
	v_mul_f64_e32 v[121:122], s[26:27], v[121:122]
	s_delay_alu instid0(VALU_DEP_3) | instskip(SKIP_1) | instid1(VALU_DEP_2)
	v_fma_f64 v[187:188], v[125:126], s[14:15], v[185:186]
	v_fma_f64 v[131:132], v[125:126], s[14:15], -v[185:186]
	v_add_f64_e32 v[72:73], v[187:188], v[72:73]
	s_wait_alu 0xfffe
	v_mul_f64_e32 v[187:188], s[30:31], v[74:75]
	s_delay_alu instid0(VALU_DEP_3) | instskip(SKIP_1) | instid1(VALU_DEP_3)
	v_add_f64_e32 v[131:132], v[131:132], v[155:156]
	v_mul_f64_e32 v[74:75], s[24:25], v[74:75]
	v_fma_f64 v[189:190], v[78:79], s[18:19], -v[187:188]
	v_fma_f64 v[133:134], v[78:79], s[18:19], v[187:188]
	s_delay_alu instid0(VALU_DEP_2) | instskip(SKIP_1) | instid1(VALU_DEP_3)
	v_add_f64_e32 v[70:71], v[189:190], v[70:71]
	v_mul_f64_e32 v[189:190], s[30:31], v[115:116]
	v_add_f64_e32 v[129:130], v[133:134], v[129:130]
	v_mul_f64_e32 v[115:116], s[24:25], v[115:116]
	s_delay_alu instid0(VALU_DEP_3) | instskip(SKIP_1) | instid1(VALU_DEP_2)
	v_fma_f64 v[191:192], v[117:118], s[18:19], v[189:190]
	v_fma_f64 v[133:134], v[117:118], s[18:19], -v[189:190]
	v_add_f64_e32 v[72:73], v[191:192], v[72:73]
	v_fma_f64 v[191:192], v[76:77], s[28:29], -v[103:104]
	v_fma_f64 v[103:104], v[76:77], s[28:29], v[103:104]
	s_delay_alu instid0(VALU_DEP_4) | instskip(NEXT) | instid1(VALU_DEP_3)
	v_add_f64_e32 v[131:132], v[133:134], v[131:132]
	v_add_f64_e32 v[70:71], v[191:192], v[70:71]
	v_fma_f64 v[191:192], v[68:69], s[28:29], v[105:106]
	s_delay_alu instid0(VALU_DEP_4) | instskip(SKIP_1) | instid1(VALU_DEP_3)
	v_add_f64_e32 v[103:104], v[103:104], v[129:130]
	v_fma_f64 v[105:106], v[68:69], s[28:29], -v[105:106]
	v_add_f64_e32 v[72:73], v[191:192], v[72:73]
	v_mul_f64_e32 v[191:192], s[26:27], v[86:87]
	s_delay_alu instid0(VALU_DEP_3) | instskip(SKIP_2) | instid1(VALU_DEP_4)
	v_add_f64_e32 v[105:106], v[105:106], v[131:132]
	v_fma_f64 v[131:132], v[88:89], s[16:17], -v[199:200]
	v_mul_f64_e32 v[86:87], s[6:7], v[86:87]
	v_fma_f64 v[193:194], v[84:85], s[22:23], -v[191:192]
	v_fma_f64 v[129:130], v[84:85], s[22:23], v[191:192]
	s_delay_alu instid0(VALU_DEP_2) | instskip(SKIP_1) | instid1(VALU_DEP_3)
	v_add_f64_e32 v[70:71], v[193:194], v[70:71]
	v_mul_f64_e32 v[193:194], s[26:27], v[82:83]
	v_add_f64_e32 v[103:104], v[129:130], v[103:104]
	v_mul_f64_e32 v[82:83], s[6:7], v[82:83]
	s_delay_alu instid0(VALU_DEP_3) | instskip(SKIP_1) | instid1(VALU_DEP_2)
	v_fma_f64 v[129:130], v[80:81], s[22:23], -v[193:194]
	v_fma_f64 v[195:196], v[80:81], s[22:23], v[193:194]
	v_add_f64_e32 v[129:130], v[129:130], v[105:106]
	v_fma_f64 v[105:106], v[93:94], s[16:17], v[197:198]
	s_delay_alu instid0(VALU_DEP_3) | instskip(SKIP_1) | instid1(VALU_DEP_3)
	v_add_f64_e32 v[195:196], v[195:196], v[72:73]
	v_fma_f64 v[72:73], v[93:94], s[16:17], -v[197:198]
	v_add_f64_e32 v[105:106], v[105:106], v[103:104]
	v_add_f64_e32 v[103:104], v[131:132], v[129:130]
	v_fma_f64 v[129:130], v[123:124], s[18:19], v[171:172]
	v_fma_f64 v[131:132], v[78:79], s[14:15], v[147:148]
	v_add_f64_e32 v[72:73], v[72:73], v[70:71]
	v_fma_f64 v[70:71], v[88:89], s[16:17], v[199:200]
	s_delay_alu instid0(VALU_DEP_4) | instskip(NEXT) | instid1(VALU_DEP_2)
	v_add_f64_e32 v[129:130], v[129:130], v[137:138]
	v_add_f64_e32 v[70:71], v[70:71], v[195:196]
	s_delay_alu instid0(VALU_DEP_2) | instskip(SKIP_1) | instid1(VALU_DEP_1)
	v_add_f64_e32 v[129:130], v[131:132], v[129:130]
	v_fma_f64 v[131:132], v[117:118], s[14:15], -v[173:174]
	v_add_f64_e32 v[127:128], v[131:132], v[127:128]
	v_fma_f64 v[131:132], v[76:77], s[16:17], v[175:176]
	s_delay_alu instid0(VALU_DEP_1) | instskip(SKIP_1) | instid1(VALU_DEP_1)
	v_add_f64_e32 v[129:130], v[131:132], v[129:130]
	v_fma_f64 v[131:132], v[68:69], s[16:17], -v[177:178]
	v_add_f64_e32 v[127:128], v[131:132], v[127:128]
	v_fma_f64 v[131:132], v[84:85], s[20:21], v[179:180]
	s_delay_alu instid0(VALU_DEP_1) | instskip(SKIP_1) | instid1(VALU_DEP_1)
	v_add_f64_e32 v[129:130], v[131:132], v[129:130]
	v_fma_f64 v[131:132], v[80:81], s[20:21], -v[181:182]
	v_add_f64_e32 v[127:128], v[131:132], v[127:128]
	v_fma_f64 v[131:132], v[88:89], s[28:29], -v[109:110]
	s_delay_alu instid0(VALU_DEP_4) | instskip(SKIP_2) | instid1(VALU_DEP_4)
	v_add_f64_e32 v[109:110], v[107:108], v[129:130]
	v_fma_f64 v[129:130], v[125:126], s[22:23], v[121:122]
	v_fma_f64 v[121:122], v[125:126], s[22:23], -v[121:122]
	v_add_f64_e32 v[107:108], v[131:132], v[127:128]
	v_fma_f64 v[127:128], v[123:124], s[22:23], -v[119:120]
	v_fma_f64 v[131:132], v[78:79], s[20:21], -v[74:75]
	v_add_f64_e32 v[129:130], v[129:130], v[169:170]
	v_fma_f64 v[119:120], v[123:124], s[22:23], v[119:120]
	v_fma_f64 v[74:75], v[78:79], s[20:21], v[74:75]
	v_add_f64_e32 v[127:128], v[127:128], v[163:164]
	s_delay_alu instid0(VALU_DEP_3) | instskip(NEXT) | instid1(VALU_DEP_2)
	v_add_f64_e32 v[78:79], v[119:120], v[139:140]
	v_add_f64_e32 v[127:128], v[131:132], v[127:128]
	v_fma_f64 v[131:132], v[117:118], s[20:21], v[115:116]
	v_fma_f64 v[115:116], v[117:118], s[20:21], -v[115:116]
	v_add_f64_e32 v[117:118], v[121:122], v[161:162]
	v_add_f64_e32 v[74:75], v[74:75], v[78:79]
	s_delay_alu instid0(VALU_DEP_4) | instskip(SKIP_1) | instid1(VALU_DEP_4)
	v_add_f64_e32 v[129:130], v[131:132], v[129:130]
	v_mul_f64_e32 v[131:132], s[10:11], v[111:112]
	v_add_f64_e32 v[78:79], v[115:116], v[117:118]
	s_delay_alu instid0(VALU_DEP_2) | instskip(SKIP_1) | instid1(VALU_DEP_2)
	v_fma_f64 v[111:112], v[76:77], s[18:19], -v[131:132]
	v_fma_f64 v[76:77], v[76:77], s[18:19], v[131:132]
	v_add_f64_e32 v[111:112], v[111:112], v[127:128]
	v_mul_f64_e32 v[127:128], s[10:11], v[113:114]
	s_delay_alu instid0(VALU_DEP_3) | instskip(SKIP_1) | instid1(VALU_DEP_3)
	v_add_f64_e32 v[74:75], v[76:77], v[74:75]
	v_fma_f64 v[76:77], v[80:81], s[16:17], -v[82:83]
	v_fma_f64 v[113:114], v[68:69], s[18:19], v[127:128]
	v_fma_f64 v[68:69], v[68:69], s[18:19], -v[127:128]
	s_delay_alu instid0(VALU_DEP_2) | instskip(SKIP_2) | instid1(VALU_DEP_4)
	v_add_f64_e32 v[113:114], v[113:114], v[129:130]
	v_fma_f64 v[129:130], v[84:85], s[16:17], -v[86:87]
	v_fma_f64 v[84:85], v[84:85], s[16:17], v[86:87]
	v_add_f64_e32 v[68:69], v[68:69], v[78:79]
	v_fma_f64 v[78:79], v[93:94], s[14:15], v[95:96]
	s_delay_alu instid0(VALU_DEP_4) | instskip(SKIP_4) | instid1(VALU_DEP_4)
	v_add_f64_e32 v[111:112], v[129:130], v[111:112]
	v_fma_f64 v[129:130], v[80:81], s[16:17], v[82:83]
	v_add_f64_e32 v[74:75], v[84:85], v[74:75]
	v_fma_f64 v[80:81], v[88:89], s[14:15], -v[90:91]
	v_add_f64_e32 v[68:69], v[76:77], v[68:69]
	v_add_f64_e32 v[129:130], v[129:130], v[113:114]
	v_fma_f64 v[113:114], v[93:94], s[14:15], -v[95:96]
	v_add_f64_e32 v[76:77], v[78:79], v[74:75]
	s_delay_alu instid0(VALU_DEP_4) | instskip(SKIP_1) | instid1(VALU_DEP_1)
	v_add_f64_e32 v[74:75], v[80:81], v[68:69]
	v_and_b32_e32 v68, 0xffff, v160
	v_lshl_add_u32 v68, v68, 4, v159
	v_add_f64_e32 v[113:114], v[113:114], v[111:112]
	v_fma_f64 v[111:112], v[88:89], s[14:15], v[90:91]
	s_delay_alu instid0(VALU_DEP_1)
	v_add_f64_e32 v[111:112], v[111:112], v[129:130]
	ds_store_b128 v68, v[64:67] offset:32
	ds_store_b128 v68, v[70:73] offset:48
	;; [unrolled: 1-line block ×11, first 2 shown]
	ds_store_b128 v68, v[0:3]
	ds_store_b128 v68, v[74:77] offset:192
.LBB0_13:
	s_or_b32 exec_lo, exec_lo, s33
	global_wb scope:SCOPE_SE
	s_wait_dscnt 0x0
	s_barrier_signal -1
	s_barrier_wait -1
	global_inv scope:SCOPE_SE
	ds_load_b128 v[0:3], v98 offset:208
	ds_load_b128 v[48:51], v98 offset:2080
	ds_load_b128 v[52:55], v98 offset:416
	ds_load_b128 v[56:59], v98 offset:1872
	ds_load_b128 v[60:63], v98 offset:624
	ds_load_b128 v[64:67], v98 offset:1664
	ds_load_b128 v[68:71], v98 offset:832
	ds_load_b128 v[72:75], v98 offset:1040
	ds_load_b128 v[76:79], v98 offset:1456
	s_mov_b32 s4, 0xf8bb580b
	s_mov_b32 s6, 0x8764f0ba
	;; [unrolled: 1-line block ×15, first 2 shown]
	s_wait_dscnt 0x7
	v_mul_f64_e32 v[80:81], v[10:11], v[48:49]
	s_wait_dscnt 0x6
	v_mul_f64_e32 v[82:83], v[46:47], v[52:53]
	v_mul_f64_e32 v[4:5], v[42:43], v[2:3]
	v_mul_f64_e32 v[6:7], v[42:43], v[0:1]
	v_mul_f64_e32 v[46:47], v[46:47], v[54:55]
	s_wait_dscnt 0x4
	v_mul_f64_e32 v[90:91], v[38:39], v[60:61]
	s_wait_dscnt 0x3
	v_mul_f64_e32 v[93:94], v[30:31], v[64:65]
	v_mul_f64_e32 v[10:11], v[10:11], v[50:51]
	;; [unrolled: 1-line block ×6, first 2 shown]
	s_wait_dscnt 0x2
	v_mul_f64_e32 v[95:96], v[26:27], v[70:71]
	v_mul_f64_e32 v[26:27], v[26:27], v[68:69]
	s_wait_dscnt 0x1
	v_mul_f64_e32 v[100:101], v[18:19], v[74:75]
	v_mul_f64_e32 v[102:103], v[18:19], v[72:73]
	s_mov_b32 s29, 0xbfe4f49e
	s_mov_b32 s34, 0xfd768dbf
	;; [unrolled: 1-line block ×7, first 2 shown]
	s_wait_alu 0xfffe
	s_mov_b32 s10, s4
	s_mov_b32 s18, s14
	;; [unrolled: 1-line block ×8, first 2 shown]
	v_fma_f64 v[86:87], v[40:41], v[0:1], v[4:5]
	v_fma_f64 v[88:89], v[40:41], v[2:3], -v[6:7]
	ds_load_b128 v[40:43], v98 offset:1248
	ds_load_b128 v[0:3], v98
	v_fma_f64 v[4:5], v[8:9], v[50:51], -v[80:81]
	v_fma_f64 v[50:51], v[44:45], v[54:55], -v[82:83]
	v_fma_f64 v[44:45], v[44:45], v[52:53], v[46:47]
	s_wait_dscnt 0x2
	v_mul_f64_e32 v[98:99], v[22:23], v[78:79]
	v_mul_f64_e32 v[22:23], v[22:23], v[76:77]
	v_fma_f64 v[54:55], v[36:37], v[62:63], -v[90:91]
	v_fma_f64 v[36:37], v[36:37], v[60:61], v[38:39]
	v_fma_f64 v[18:19], v[28:29], v[64:65], v[30:31]
	v_fma_f64 v[6:7], v[32:33], v[58:59], -v[84:85]
	v_fma_f64 v[8:9], v[8:9], v[48:49], v[10:11]
	v_fma_f64 v[10:11], v[32:33], v[56:57], v[34:35]
	;; [unrolled: 1-line block ×3, first 2 shown]
	v_fma_f64 v[24:25], v[24:25], v[70:71], -v[26:27]
	s_wait_dscnt 0x1
	v_mul_f64_e32 v[104:105], v[14:15], v[42:43]
	v_mul_f64_e32 v[106:107], v[14:15], v[40:41]
	v_fma_f64 v[14:15], v[28:29], v[66:67], -v[93:94]
	s_wait_dscnt 0x0
	v_add_f64_e32 v[46:47], v[0:1], v[86:87]
	v_add_f64_e32 v[52:53], v[2:3], v[88:89]
	v_add_f64_e64 v[30:31], v[88:89], -v[4:5]
	v_add_f64_e32 v[34:35], v[88:89], v[4:5]
	v_fma_f64 v[26:27], v[20:21], v[76:77], v[98:99]
	v_fma_f64 v[20:21], v[20:21], v[78:79], -v[22:23]
	v_fma_f64 v[22:23], v[16:17], v[72:73], v[100:101]
	v_fma_f64 v[16:17], v[16:17], v[74:75], -v[102:103]
	v_add_f64_e32 v[60:61], v[36:37], v[18:19]
	v_add_f64_e64 v[62:63], v[36:37], -v[18:19]
	v_add_f64_e64 v[38:39], v[50:51], -v[6:7]
	;; [unrolled: 1-line block ×3, first 2 shown]
	v_add_f64_e32 v[58:59], v[44:45], v[10:11]
	v_fma_f64 v[28:29], v[12:13], v[40:41], v[104:105]
	v_fma_f64 v[12:13], v[12:13], v[42:43], -v[106:107]
	v_add_f64_e32 v[40:41], v[50:51], v[6:7]
	v_add_f64_e64 v[48:49], v[54:55], -v[14:15]
	v_add_f64_e32 v[42:43], v[46:47], v[44:45]
	v_add_f64_e32 v[46:47], v[52:53], v[50:51]
	;; [unrolled: 1-line block ×4, first 2 shown]
	v_mul_f64_e32 v[80:81], s[4:5], v[30:31]
	v_mul_f64_e32 v[82:83], s[6:7], v[34:35]
	;; [unrolled: 1-line block ×10, first 2 shown]
	v_add_f64_e32 v[64:65], v[32:33], v[26:27]
	v_add_f64_e32 v[66:67], v[24:25], v[20:21]
	v_add_f64_e64 v[68:69], v[24:25], -v[20:21]
	v_add_f64_e64 v[70:71], v[32:33], -v[26:27]
	;; [unrolled: 1-line block ×3, first 2 shown]
	v_mul_f64_e32 v[98:99], s[14:15], v[38:39]
	v_mul_f64_e32 v[102:103], s[26:27], v[38:39]
	s_wait_alu 0xfffe
	v_mul_f64_e32 v[106:107], s[24:25], v[38:39]
	v_add_f64_e32 v[72:73], v[22:23], v[28:29]
	v_add_f64_e32 v[74:75], v[16:17], v[12:13]
	v_mul_f64_e32 v[100:101], s[16:17], v[40:41]
	v_mul_f64_e32 v[104:105], s[36:37], v[40:41]
	;; [unrolled: 1-line block ×3, first 2 shown]
	v_add_f64_e64 v[76:77], v[22:23], -v[28:29]
	v_add_f64_e64 v[78:79], v[16:17], -v[12:13]
	v_mul_f64_e32 v[110:111], s[20:21], v[48:49]
	v_mul_f64_e32 v[114:115], s[38:39], v[48:49]
	v_mul_f64_e32 v[118:119], s[18:19], v[48:49]
	v_mul_f64_e32 v[122:123], s[4:5], v[48:49]
	v_mul_f64_e32 v[48:49], s[26:27], v[48:49]
	v_add_f64_e32 v[36:37], v[42:43], v[36:37]
	v_add_f64_e32 v[42:43], v[46:47], v[54:55]
	v_mul_f64_e32 v[46:47], s[28:29], v[40:41]
	v_mul_f64_e32 v[54:55], s[38:39], v[38:39]
	;; [unrolled: 1-line block ×4, first 2 shown]
	v_fma_f64 v[161:162], v[52:53], s[16:17], v[84:85]
	v_fma_f64 v[163:164], v[56:57], s[18:19], v[86:87]
	v_fma_f64 v[84:85], v[52:53], s[16:17], -v[84:85]
	v_fma_f64 v[165:166], v[52:53], s[22:23], v[88:89]
	v_fma_f64 v[167:168], v[56:57], s[24:25], v[90:91]
	v_fma_f64 v[88:89], v[52:53], s[22:23], -v[88:89]
	;; [unrolled: 3-line block ×4, first 2 shown]
	v_fma_f64 v[34:35], v[56:57], s[34:35], v[34:35]
	v_fma_f64 v[95:96], v[56:57], s[26:27], v[95:96]
	;; [unrolled: 1-line block ×4, first 2 shown]
	v_mul_f64_e32 v[112:113], s[22:23], v[50:51]
	v_mul_f64_e32 v[144:145], s[36:37], v[74:75]
	;; [unrolled: 1-line block ×6, first 2 shown]
	v_fma_f64 v[177:178], v[58:59], s[28:29], v[102:103]
	v_mul_f64_e32 v[120:121], s[16:17], v[50:51]
	v_fma_f64 v[102:103], v[58:59], s[28:29], -v[102:103]
	v_fma_f64 v[183:184], v[44:45], s[34:35], v[104:105]
	v_mul_f64_e32 v[124:125], s[6:7], v[50:51]
	v_fma_f64 v[185:186], v[58:59], s[22:23], v[106:107]
	v_fma_f64 v[187:188], v[44:45], s[20:21], v[108:109]
	v_mul_f64_e32 v[50:51], s[28:29], v[50:51]
	v_fma_f64 v[106:107], v[58:59], s[22:23], -v[106:107]
	v_fma_f64 v[104:105], v[44:45], s[38:39], v[104:105]
	v_add_f64_e32 v[32:33], v[36:37], v[32:33]
	v_add_f64_e32 v[24:25], v[42:43], v[24:25]
	v_mul_f64_e32 v[36:37], s[22:23], v[74:75]
	v_fma_f64 v[42:43], v[52:53], s[6:7], v[80:81]
	v_fma_f64 v[74:75], v[56:57], s[10:11], v[82:83]
	v_fma_f64 v[80:81], v[52:53], s[6:7], -v[80:81]
	v_fma_f64 v[82:83], v[56:57], s[4:5], v[82:83]
	v_fma_f64 v[52:53], v[58:59], s[16:17], v[98:99]
	;; [unrolled: 1-line block ×3, first 2 shown]
	v_fma_f64 v[98:99], v[58:59], s[16:17], -v[98:99]
	v_fma_f64 v[100:101], v[44:45], s[14:15], v[100:101]
	v_fma_f64 v[179:180], v[44:45], s[30:31], v[46:47]
	v_add_f64_e32 v[161:162], v[0:1], v[161:162]
	v_add_f64_e32 v[163:164], v[2:3], v[163:164]
	v_fma_f64 v[181:182], v[58:59], s[36:37], v[54:55]
	v_add_f64_e32 v[84:85], v[0:1], v[84:85]
	v_add_f64_e32 v[165:166], v[0:1], v[165:166]
	;; [unrolled: 1-line block ×3, first 2 shown]
	v_fma_f64 v[54:55], v[58:59], s[36:37], -v[54:55]
	v_add_f64_e32 v[88:89], v[0:1], v[88:89]
	v_add_f64_e32 v[169:170], v[0:1], v[169:170]
	;; [unrolled: 1-line block ×7, first 2 shown]
	v_fma_f64 v[46:47], v[44:45], s[26:27], v[46:47]
	v_add_f64_e32 v[86:87], v[2:3], v[86:87]
	v_mul_f64_e32 v[126:127], s[26:27], v[68:69]
	v_mul_f64_e32 v[130:131], s[24:25], v[68:69]
	;; [unrolled: 1-line block ×3, first 2 shown]
	v_fma_f64 v[189:190], v[60:61], s[36:37], v[114:115]
	v_fma_f64 v[191:192], v[62:63], s[34:35], v[116:117]
	v_mul_f64_e32 v[134:135], s[4:5], v[68:69]
	v_mul_f64_e32 v[136:137], s[6:7], v[66:67]
	v_fma_f64 v[193:194], v[60:61], s[16:17], v[118:119]
	v_fma_f64 v[195:196], v[62:63], s[14:15], v[120:121]
	v_mul_f64_e32 v[138:139], s[34:35], v[68:69]
	v_add_f64_e32 v[22:23], v[32:33], v[22:23]
	v_add_f64_e32 v[16:17], v[24:25], v[16:17]
	v_fma_f64 v[24:25], v[44:45], s[24:25], v[108:109]
	v_add_f64_e32 v[42:43], v[0:1], v[42:43]
	v_fma_f64 v[32:33], v[58:59], s[6:7], v[38:39]
	v_add_f64_e32 v[80:81], v[0:1], v[80:81]
	v_add_f64_e32 v[82:83], v[2:3], v[82:83]
	v_fma_f64 v[108:109], v[44:45], s[4:5], v[40:41]
	v_fma_f64 v[38:39], v[58:59], s[6:7], -v[38:39]
	v_fma_f64 v[40:41], v[44:45], s[10:11], v[40:41]
	v_add_f64_e32 v[0:1], v[0:1], v[30:31]
	v_add_f64_e32 v[30:31], v[2:3], v[34:35]
	;; [unrolled: 1-line block ×4, first 2 shown]
	v_fma_f64 v[44:45], v[60:61], s[22:23], v[110:111]
	v_fma_f64 v[58:59], v[62:63], s[24:25], v[112:113]
	v_fma_f64 v[110:111], v[60:61], s[22:23], -v[110:111]
	v_fma_f64 v[112:113], v[62:63], s[20:21], v[112:113]
	v_add_f64_e32 v[84:85], v[102:103], v[84:85]
	v_add_f64_e32 v[102:103], v[183:184], v[167:168]
	v_mul_f64_e32 v[140:141], s[36:37], v[66:67]
	v_fma_f64 v[118:119], v[60:61], s[16:17], -v[118:119]
	v_add_f64_e32 v[54:55], v[54:55], v[88:89]
	v_add_f64_e32 v[88:89], v[185:186], v[169:170]
	v_mul_f64_e32 v[128:129], s[28:29], v[66:67]
	v_mul_f64_e32 v[68:69], s[18:19], v[68:69]
	;; [unrolled: 1-line block ×3, first 2 shown]
	v_fma_f64 v[74:75], v[60:61], s[6:7], -v[122:123]
	v_fma_f64 v[95:96], v[62:63], s[4:5], v[124:125]
	v_add_f64_e32 v[93:94], v[106:107], v[93:94]
	v_fma_f64 v[120:121], v[62:63], s[18:19], v[120:121]
	v_fma_f64 v[114:115], v[60:61], s[36:37], -v[114:115]
	v_fma_f64 v[116:117], v[62:63], s[38:39], v[116:117]
	v_mul_f64_e32 v[146:147], s[10:11], v[78:79]
	v_fma_f64 v[197:198], v[64:65], s[22:23], v[130:131]
	v_fma_f64 v[199:200], v[70:71], s[20:21], v[132:133]
	v_mul_f64_e32 v[150:151], s[26:27], v[78:79]
	v_mul_f64_e32 v[154:155], s[18:19], v[78:79]
	v_add_f64_e32 v[22:23], v[22:23], v[28:29]
	v_add_f64_e32 v[12:13], v[16:17], v[12:13]
	v_fma_f64 v[16:17], v[60:61], s[6:7], v[122:123]
	v_add_f64_e32 v[42:43], v[52:53], v[42:43]
	v_fma_f64 v[28:29], v[62:63], s[10:11], v[124:125]
	v_add_f64_e32 v[52:53], v[98:99], v[80:81]
	v_add_f64_e32 v[80:81], v[100:101], v[82:83]
	;; [unrolled: 1-line block ×6, first 2 shown]
	v_fma_f64 v[122:123], v[60:61], s[28:29], v[48:49]
	v_fma_f64 v[124:125], v[62:63], s[30:31], v[50:51]
	v_add_f64_e32 v[32:33], v[32:33], v[173:174]
	v_add_f64_e32 v[106:107], v[108:109], v[175:176]
	v_fma_f64 v[48:49], v[60:61], s[28:29], -v[48:49]
	v_fma_f64 v[50:51], v[62:63], s[26:27], v[50:51]
	v_add_f64_e32 v[0:1], v[38:39], v[0:1]
	v_add_f64_e32 v[30:31], v[40:41], v[30:31]
	;; [unrolled: 1-line block ×6, first 2 shown]
	v_fma_f64 v[60:61], v[64:65], s[28:29], v[126:127]
	v_fma_f64 v[40:41], v[64:65], s[6:7], -v[134:135]
	v_fma_f64 v[56:57], v[64:65], s[36:37], v[138:139]
	v_fma_f64 v[86:87], v[70:71], s[38:39], v[140:141]
	v_add_f64_e32 v[54:55], v[118:119], v[54:55]
	v_mul_f64_e32 v[142:143], s[34:35], v[78:79]
	v_mul_f64_e32 v[78:79], s[20:21], v[78:79]
	v_fma_f64 v[90:91], v[64:65], s[36:37], -v[138:139]
	v_fma_f64 v[108:109], v[64:65], s[16:17], v[68:69]
	v_add_f64_e32 v[74:75], v[74:75], v[93:94]
	v_fma_f64 v[126:127], v[64:65], s[28:29], -v[126:127]
	v_fma_f64 v[130:131], v[64:65], s[22:23], -v[130:131]
	v_fma_f64 v[104:105], v[70:71], s[34:35], v[140:141]
	v_fma_f64 v[46:47], v[70:71], s[4:5], v[136:137]
	;; [unrolled: 1-line block ×3, first 2 shown]
	v_add_f64_e32 v[22:23], v[22:23], v[26:27]
	v_add_f64_e32 v[12:13], v[12:13], v[20:21]
	v_fma_f64 v[20:21], v[64:65], s[6:7], v[134:135]
	v_add_f64_e32 v[42:43], v[44:45], v[42:43]
	v_fma_f64 v[26:27], v[70:71], s[10:11], v[136:137]
	v_add_f64_e32 v[44:45], v[110:111], v[52:53]
	v_add_f64_e32 v[52:53], v[112:113], v[80:81]
	;; [unrolled: 1-line block ×8, first 2 shown]
	v_fma_f64 v[134:135], v[70:71], s[14:15], v[66:67]
	v_add_f64_e32 v[32:33], v[122:123], v[32:33]
	v_add_f64_e32 v[88:89], v[124:125], v[106:107]
	v_fma_f64 v[64:65], v[64:65], s[16:17], -v[68:69]
	v_fma_f64 v[66:67], v[70:71], s[18:19], v[66:67]
	v_add_f64_e32 v[0:1], v[48:49], v[0:1]
	v_add_f64_e32 v[30:31], v[50:51], v[30:31]
	;; [unrolled: 1-line block ×6, first 2 shown]
	v_fma_f64 v[62:63], v[70:71], s[30:31], v[128:129]
	v_fma_f64 v[128:129], v[70:71], s[26:27], v[128:129]
	v_add_f64_e32 v[2:3], v[58:59], v[2:3]
	v_fma_f64 v[70:71], v[76:77], s[38:39], v[144:145]
	v_fma_f64 v[138:139], v[76:77], s[34:35], v[144:145]
	;; [unrolled: 1-line block ×11, first 2 shown]
	v_add_f64_e32 v[18:19], v[22:23], v[18:19]
	v_add_f64_e32 v[12:13], v[12:13], v[14:15]
	v_fma_f64 v[14:15], v[72:73], s[6:7], v[146:147]
	v_fma_f64 v[22:23], v[76:77], s[4:5], v[148:149]
	v_add_f64_e32 v[42:43], v[60:61], v[42:43]
	v_add_f64_e32 v[40:41], v[40:41], v[54:55]
	v_fma_f64 v[95:96], v[72:73], s[28:29], -v[150:151]
	v_add_f64_e32 v[60:61], v[197:198], v[80:81]
	v_add_f64_e32 v[76:77], v[199:200], v[82:83]
	;; [unrolled: 1-line block ×6, first 2 shown]
	v_fma_f64 v[116:117], v[72:73], s[22:23], v[78:79]
	v_add_f64_e32 v[56:57], v[90:91], v[74:75]
	v_add_f64_e32 v[74:75], v[108:109], v[32:33]
	;; [unrolled: 1-line block ×3, first 2 shown]
	v_fma_f64 v[68:69], v[72:73], s[36:37], v[142:143]
	v_fma_f64 v[136:137], v[72:73], s[36:37], -v[142:143]
	v_fma_f64 v[48:49], v[72:73], s[6:7], -v[146:147]
	;; [unrolled: 1-line block ×4, first 2 shown]
	v_add_f64_e32 v[44:45], v[126:127], v[44:45]
	v_add_f64_e32 v[64:65], v[64:65], v[0:1]
	;; [unrolled: 1-line block ×33, first 2 shown]
	ds_store_b128 v97, v[14:17] offset:416
	ds_store_b128 v97, v[22:25] offset:624
	;; [unrolled: 1-line block ×9, first 2 shown]
	ds_store_b128 v97, v[6:9]
	ds_store_b128 v97, v[0:3] offset:208
	global_wb scope:SCOPE_SE
	s_wait_dscnt 0x0
	s_barrier_signal -1
	s_barrier_wait -1
	global_inv scope:SCOPE_SE
	s_and_b32 exec_lo, exec_lo, vcc_lo
	s_cbranch_execz .LBB0_15
; %bb.14:
	s_clause 0xb
	global_load_b128 v[0:3], v157, s[8:9]
	global_load_b128 v[4:7], v157, s[8:9] offset:176
	global_load_b128 v[8:11], v157, s[8:9] offset:352
	;; [unrolled: 1-line block ×11, first 2 shown]
	v_mad_co_u64_u32 v[80:81], null, s2, v92, 0
	v_mad_co_u64_u32 v[98:99], null, s0, v158, 0
	s_delay_alu instid0(VALU_DEP_2) | instskip(NEXT) | instid1(VALU_DEP_2)
	v_mov_b32_e32 v48, v81
	v_mov_b32_e32 v56, v99
	s_delay_alu instid0(VALU_DEP_2)
	v_mad_co_u64_u32 v[64:65], null, s3, v92, v[48:49]
	ds_load_b128 v[48:51], v97
	ds_load_b128 v[52:55], v97 offset:176
	v_mad_co_u64_u32 v[82:83], null, s1, v158, v[56:57]
	ds_load_b128 v[56:59], v97 offset:352
	ds_load_b128 v[60:63], v97 offset:528
	s_mul_u64 s[0:1], s[0:1], 0xb0
	s_mov_b32 s2, 0x55ee191
	v_mov_b32_e32 v81, v64
	ds_load_b128 v[64:67], v97 offset:704
	ds_load_b128 v[68:71], v97 offset:880
	;; [unrolled: 1-line block ×4, first 2 shown]
	s_mov_b32 s3, 0x3f7ca4b3
	v_mov_b32_e32 v99, v82
	v_lshlrev_b64_e32 v[100:101], 4, v[80:81]
	ds_load_b128 v[80:83], v97 offset:1408
	ds_load_b128 v[84:87], v97 offset:1584
	;; [unrolled: 1-line block ×4, first 2 shown]
	v_lshlrev_b64_e32 v[98:99], 4, v[98:99]
	v_add_co_u32 v96, vcc_lo, s12, v100
	v_add_co_ci_u32_e32 v124, vcc_lo, s13, v101, vcc_lo
	s_delay_alu instid0(VALU_DEP_2) | instskip(SKIP_1) | instid1(VALU_DEP_2)
	v_add_co_u32 v98, vcc_lo, v96, v98
	s_wait_alu 0xfffd
	v_add_co_ci_u32_e32 v99, vcc_lo, v124, v99, vcc_lo
	s_wait_alu 0xfffe
	s_delay_alu instid0(VALU_DEP_2) | instskip(SKIP_1) | instid1(VALU_DEP_2)
	v_add_co_u32 v124, vcc_lo, v98, s0
	s_wait_alu 0xfffd
	v_add_co_ci_u32_e32 v125, vcc_lo, s1, v99, vcc_lo
	s_delay_alu instid0(VALU_DEP_2) | instskip(SKIP_1) | instid1(VALU_DEP_2)
	v_add_co_u32 v126, vcc_lo, v124, s0
	s_wait_alu 0xfffd
	v_add_co_ci_u32_e32 v127, vcc_lo, s1, v125, vcc_lo
	s_wait_loadcnt_dscnt 0xb0b
	v_mul_f64_e32 v[100:101], v[50:51], v[2:3]
	v_mul_f64_e32 v[2:3], v[48:49], v[2:3]
	s_wait_loadcnt_dscnt 0xa0a
	v_mul_f64_e32 v[102:103], v[54:55], v[6:7]
	v_mul_f64_e32 v[6:7], v[52:53], v[6:7]
	;; [unrolled: 3-line block ×12, first 2 shown]
	v_fma_f64 v[48:49], v[48:49], v[0:1], v[100:101]
	v_fma_f64 v[2:3], v[0:1], v[50:51], -v[2:3]
	v_fma_f64 v[50:51], v[52:53], v[4:5], v[102:103]
	v_fma_f64 v[6:7], v[4:5], v[54:55], -v[6:7]
	;; [unrolled: 2-line block ×12, first 2 shown]
	v_add_co_u32 v72, vcc_lo, v126, s0
	s_wait_alu 0xfffd
	v_add_co_ci_u32_e32 v73, vcc_lo, s1, v127, vcc_lo
	s_delay_alu instid0(VALU_DEP_2) | instskip(SKIP_1) | instid1(VALU_DEP_2)
	v_add_co_u32 v74, vcc_lo, v72, s0
	s_wait_alu 0xfffd
	v_add_co_ci_u32_e32 v75, vcc_lo, s1, v73, vcc_lo
	s_delay_alu instid0(VALU_DEP_2) | instskip(SKIP_1) | instid1(VALU_DEP_2)
	v_add_co_u32 v76, vcc_lo, v74, s0
	s_wait_alu 0xfffd
	v_add_co_ci_u32_e32 v77, vcc_lo, s1, v75, vcc_lo
	v_mul_f64_e32 v[0:1], s[2:3], v[48:49]
	v_mul_f64_e32 v[2:3], s[2:3], v[2:3]
	;; [unrolled: 1-line block ×24, first 2 shown]
	v_add_co_u32 v48, vcc_lo, v76, s0
	s_wait_alu 0xfffd
	v_add_co_ci_u32_e32 v49, vcc_lo, s1, v77, vcc_lo
	s_delay_alu instid0(VALU_DEP_2) | instskip(SKIP_1) | instid1(VALU_DEP_2)
	v_add_co_u32 v50, vcc_lo, v48, s0
	s_wait_alu 0xfffd
	v_add_co_ci_u32_e32 v51, vcc_lo, s1, v49, vcc_lo
	s_delay_alu instid0(VALU_DEP_2) | instskip(SKIP_1) | instid1(VALU_DEP_2)
	;; [unrolled: 4-line block ×5, first 2 shown]
	v_add_co_u32 v58, vcc_lo, v56, s0
	s_wait_alu 0xfffd
	v_add_co_ci_u32_e32 v59, vcc_lo, s1, v57, vcc_lo
	s_clause 0x4
	global_store_b128 v[98:99], v[0:3], off
	global_store_b128 v[124:125], v[4:7], off
	;; [unrolled: 1-line block ×12, first 2 shown]
	global_load_b128 v[0:3], v157, s[8:9] offset:2112
	ds_load_b128 v[4:7], v97 offset:2112
	s_wait_loadcnt_dscnt 0x0
	v_mul_f64_e32 v[8:9], v[6:7], v[2:3]
	v_mul_f64_e32 v[2:3], v[4:5], v[2:3]
	s_delay_alu instid0(VALU_DEP_2) | instskip(NEXT) | instid1(VALU_DEP_2)
	v_fma_f64 v[4:5], v[4:5], v[0:1], v[8:9]
	v_fma_f64 v[2:3], v[0:1], v[6:7], -v[2:3]
	s_delay_alu instid0(VALU_DEP_2) | instskip(NEXT) | instid1(VALU_DEP_2)
	v_mul_f64_e32 v[0:1], s[2:3], v[4:5]
	v_mul_f64_e32 v[2:3], s[2:3], v[2:3]
	v_add_co_u32 v4, vcc_lo, v58, s0
	s_wait_alu 0xfffd
	v_add_co_ci_u32_e32 v5, vcc_lo, s1, v59, vcc_lo
	global_store_b128 v[4:5], v[0:3], off
.LBB0_15:
	s_nop 0
	s_sendmsg sendmsg(MSG_DEALLOC_VGPRS)
	s_endpgm
	.section	.rodata,"a",@progbits
	.p2align	6, 0x0
	.amdhsa_kernel bluestein_single_fwd_len143_dim1_dp_op_CI_CI
		.amdhsa_group_segment_fixed_size 32032
		.amdhsa_private_segment_fixed_size 0
		.amdhsa_kernarg_size 104
		.amdhsa_user_sgpr_count 2
		.amdhsa_user_sgpr_dispatch_ptr 0
		.amdhsa_user_sgpr_queue_ptr 0
		.amdhsa_user_sgpr_kernarg_segment_ptr 1
		.amdhsa_user_sgpr_dispatch_id 0
		.amdhsa_user_sgpr_private_segment_size 0
		.amdhsa_wavefront_size32 1
		.amdhsa_uses_dynamic_stack 0
		.amdhsa_enable_private_segment 0
		.amdhsa_system_sgpr_workgroup_id_x 1
		.amdhsa_system_sgpr_workgroup_id_y 0
		.amdhsa_system_sgpr_workgroup_id_z 0
		.amdhsa_system_sgpr_workgroup_info 0
		.amdhsa_system_vgpr_workitem_id 0
		.amdhsa_next_free_vgpr 256
		.amdhsa_next_free_sgpr 46
		.amdhsa_reserve_vcc 1
		.amdhsa_float_round_mode_32 0
		.amdhsa_float_round_mode_16_64 0
		.amdhsa_float_denorm_mode_32 3
		.amdhsa_float_denorm_mode_16_64 3
		.amdhsa_fp16_overflow 0
		.amdhsa_workgroup_processor_mode 1
		.amdhsa_memory_ordered 1
		.amdhsa_forward_progress 0
		.amdhsa_round_robin_scheduling 0
		.amdhsa_exception_fp_ieee_invalid_op 0
		.amdhsa_exception_fp_denorm_src 0
		.amdhsa_exception_fp_ieee_div_zero 0
		.amdhsa_exception_fp_ieee_overflow 0
		.amdhsa_exception_fp_ieee_underflow 0
		.amdhsa_exception_fp_ieee_inexact 0
		.amdhsa_exception_int_div_zero 0
	.end_amdhsa_kernel
	.text
.Lfunc_end0:
	.size	bluestein_single_fwd_len143_dim1_dp_op_CI_CI, .Lfunc_end0-bluestein_single_fwd_len143_dim1_dp_op_CI_CI
                                        ; -- End function
	.section	.AMDGPU.csdata,"",@progbits
; Kernel info:
; codeLenInByte = 14296
; NumSgprs: 48
; NumVgprs: 256
; ScratchSize: 0
; MemoryBound: 0
; FloatMode: 240
; IeeeMode: 1
; LDSByteSize: 32032 bytes/workgroup (compile time only)
; SGPRBlocks: 5
; VGPRBlocks: 31
; NumSGPRsForWavesPerEU: 48
; NumVGPRsForWavesPerEU: 256
; Occupancy: 5
; WaveLimiterHint : 1
; COMPUTE_PGM_RSRC2:SCRATCH_EN: 0
; COMPUTE_PGM_RSRC2:USER_SGPR: 2
; COMPUTE_PGM_RSRC2:TRAP_HANDLER: 0
; COMPUTE_PGM_RSRC2:TGID_X_EN: 1
; COMPUTE_PGM_RSRC2:TGID_Y_EN: 0
; COMPUTE_PGM_RSRC2:TGID_Z_EN: 0
; COMPUTE_PGM_RSRC2:TIDIG_COMP_CNT: 0
	.text
	.p2alignl 7, 3214868480
	.fill 96, 4, 3214868480
	.type	__hip_cuid_37d7a21ae6cdedab,@object ; @__hip_cuid_37d7a21ae6cdedab
	.section	.bss,"aw",@nobits
	.globl	__hip_cuid_37d7a21ae6cdedab
__hip_cuid_37d7a21ae6cdedab:
	.byte	0                               ; 0x0
	.size	__hip_cuid_37d7a21ae6cdedab, 1

	.ident	"AMD clang version 19.0.0git (https://github.com/RadeonOpenCompute/llvm-project roc-6.4.0 25133 c7fe45cf4b819c5991fe208aaa96edf142730f1d)"
	.section	".note.GNU-stack","",@progbits
	.addrsig
	.addrsig_sym __hip_cuid_37d7a21ae6cdedab
	.amdgpu_metadata
---
amdhsa.kernels:
  - .args:
      - .actual_access:  read_only
        .address_space:  global
        .offset:         0
        .size:           8
        .value_kind:     global_buffer
      - .actual_access:  read_only
        .address_space:  global
        .offset:         8
        .size:           8
        .value_kind:     global_buffer
      - .actual_access:  read_only
        .address_space:  global
        .offset:         16
        .size:           8
        .value_kind:     global_buffer
      - .actual_access:  read_only
        .address_space:  global
        .offset:         24
        .size:           8
        .value_kind:     global_buffer
      - .actual_access:  read_only
        .address_space:  global
        .offset:         32
        .size:           8
        .value_kind:     global_buffer
      - .offset:         40
        .size:           8
        .value_kind:     by_value
      - .address_space:  global
        .offset:         48
        .size:           8
        .value_kind:     global_buffer
      - .address_space:  global
        .offset:         56
        .size:           8
        .value_kind:     global_buffer
      - .address_space:  global
        .offset:         64
        .size:           8
        .value_kind:     global_buffer
      - .address_space:  global
        .offset:         72
        .size:           8
        .value_kind:     global_buffer
      - .offset:         80
        .size:           4
        .value_kind:     by_value
      - .address_space:  global
        .offset:         88
        .size:           8
        .value_kind:     global_buffer
      - .address_space:  global
        .offset:         96
        .size:           8
        .value_kind:     global_buffer
    .group_segment_fixed_size: 32032
    .kernarg_segment_align: 8
    .kernarg_segment_size: 104
    .language:       OpenCL C
    .language_version:
      - 2
      - 0
    .max_flat_workgroup_size: 182
    .name:           bluestein_single_fwd_len143_dim1_dp_op_CI_CI
    .private_segment_fixed_size: 0
    .sgpr_count:     48
    .sgpr_spill_count: 0
    .symbol:         bluestein_single_fwd_len143_dim1_dp_op_CI_CI.kd
    .uniform_work_group_size: 1
    .uses_dynamic_stack: false
    .vgpr_count:     256
    .vgpr_spill_count: 0
    .wavefront_size: 32
    .workgroup_processor_mode: 1
amdhsa.target:   amdgcn-amd-amdhsa--gfx1201
amdhsa.version:
  - 1
  - 2
...

	.end_amdgpu_metadata
